;; amdgpu-corpus repo=ROCm/rocFFT kind=compiled arch=gfx906 opt=O3
	.text
	.amdgcn_target "amdgcn-amd-amdhsa--gfx906"
	.amdhsa_code_object_version 6
	.protected	bluestein_single_fwd_len260_dim1_half_op_CI_CI ; -- Begin function bluestein_single_fwd_len260_dim1_half_op_CI_CI
	.globl	bluestein_single_fwd_len260_dim1_half_op_CI_CI
	.p2align	8
	.type	bluestein_single_fwd_len260_dim1_half_op_CI_CI,@function
bluestein_single_fwd_len260_dim1_half_op_CI_CI: ; @bluestein_single_fwd_len260_dim1_half_op_CI_CI
; %bb.0:
	s_load_dwordx4 s[0:3], s[4:5], 0x28
	v_mul_u32_u24_e32 v1, 0x9d9, v0
	v_lshrrev_b32_e32 v1, 16, v1
	v_lshl_add_u32 v8, s6, 1, v1
	v_mov_b32_e32 v9, 0
	s_waitcnt lgkmcnt(0)
	v_cmp_gt_u64_e32 vcc, s[0:1], v[8:9]
	s_and_saveexec_b64 s[0:1], vcc
	s_cbranch_execz .LBB0_15
; %bb.1:
	s_load_dwordx2 s[6:7], s[4:5], 0x0
	s_load_dwordx2 s[12:13], s[4:5], 0x38
	v_mul_lo_u16_e32 v2, 26, v1
	v_sub_u16_e32 v21, v0, v2
	v_and_b32_e32 v0, 1, v1
	v_mov_b32_e32 v1, 0x104
	v_cmp_eq_u32_e32 vcc, 1, v0
	v_cndmask_b32_e32 v23, 0, v1, vcc
	v_cmp_gt_u16_e32 vcc, 20, v21
	v_lshlrev_b32_e32 v22, 2, v21
	v_lshlrev_b32_e32 v24, 2, v23
	s_and_saveexec_b64 s[14:15], vcc
	s_cbranch_execz .LBB0_3
; %bb.2:
	s_load_dwordx2 s[0:1], s[4:5], 0x18
	v_mov_b32_e32 v17, 0xa0
	s_waitcnt lgkmcnt(0)
	s_load_dwordx4 s[8:11], s[0:1], 0x0
	s_waitcnt lgkmcnt(0)
	v_mad_u64_u32 v[0:1], s[0:1], s10, v8, 0
	v_mad_u64_u32 v[2:3], s[0:1], s8, v21, 0
	s_mul_i32 s10, s8, 0x50
	v_mad_u64_u32 v[4:5], s[0:1], s11, v8, v[1:2]
	v_mad_u64_u32 v[5:6], s[0:1], s9, v21, v[3:4]
	v_mov_b32_e32 v1, v4
	v_lshlrev_b64 v[0:1], 2, v[0:1]
	v_mov_b32_e32 v3, v5
	v_mov_b32_e32 v6, s3
	v_lshlrev_b64 v[2:3], 2, v[2:3]
	v_add_co_u32_e64 v5, s[0:1], s2, v0
	v_addc_co_u32_e64 v6, s[0:1], v6, v1, s[0:1]
	v_add_co_u32_e64 v0, s[0:1], v5, v2
	v_or_b32_e32 v4, 0xa0, v21
	s_mul_i32 s2, s9, 0x50
	s_mul_hi_u32 s3, s8, 0x50
	v_addc_co_u32_e64 v1, s[0:1], v6, v3, s[0:1]
	v_mad_u64_u32 v[2:3], s[0:1], s8, v4, 0
	s_add_i32 s2, s3, s2
	global_load_dword v7, v[0:1], off
	global_load_dword v9, v22, s[6:7]
	v_mov_b32_e32 v18, s2
	v_add_co_u32_e64 v0, s[0:1], s10, v0
	v_addc_co_u32_e64 v1, s[0:1], v1, v18, s[0:1]
	global_load_dword v10, v22, s[6:7] offset:80
	global_load_dword v11, v22, s[6:7] offset:160
	;; [unrolled: 1-line block ×7, first 2 shown]
	global_load_dword v18, v[0:1], off
	v_mov_b32_e32 v19, s2
	v_add_co_u32_e64 v0, s[0:1], s10, v0
	v_addc_co_u32_e64 v1, s[0:1], v1, v19, s[0:1]
	global_load_dword v19, v[0:1], off
	v_mov_b32_e32 v20, s2
	v_add_co_u32_e64 v0, s[0:1], s10, v0
	v_addc_co_u32_e64 v1, s[0:1], v1, v20, s[0:1]
	global_load_dword v20, v[0:1], off
	v_mad_u64_u32 v[3:4], s[0:1], s9, v4, v[3:4]
	v_mov_b32_e32 v25, s2
	v_add_co_u32_e64 v0, s[0:1], s10, v0
	v_addc_co_u32_e64 v1, s[0:1], v1, v25, s[0:1]
	global_load_dword v4, v[0:1], off
	v_mov_b32_e32 v26, s2
	v_add_co_u32_e64 v0, s[0:1], s10, v0
	v_addc_co_u32_e64 v1, s[0:1], v1, v26, s[0:1]
	global_load_dword v26, v[0:1], off
	v_mov_b32_e32 v27, s2
	v_add_co_u32_e64 v0, s[0:1], s10, v0
	v_addc_co_u32_e64 v1, s[0:1], v1, v27, s[0:1]
	global_load_dword v27, v[0:1], off
	v_add_co_u32_e64 v0, s[0:1], s10, v0
	v_lshlrev_b64 v[2:3], 2, v[2:3]
	v_addc_co_u32_e64 v1, s[0:1], v1, v25, s[0:1]
	global_load_dword v25, v[0:1], off
	v_add_co_u32_e64 v2, s[0:1], v5, v2
	v_addc_co_u32_e64 v3, s[0:1], v6, v3, s[0:1]
	global_load_dword v2, v[2:3], off
	v_mad_u64_u32 v[0:1], s[0:1], s8, v17, v[0:1]
	global_load_dword v3, v22, s[6:7] offset:640
	global_load_dword v5, v22, s[6:7] offset:720
	s_mul_i32 s0, s9, 0xa0
	v_add_u32_e32 v1, s0, v1
	global_load_dword v17, v[0:1], off
	v_mov_b32_e32 v6, s2
	v_add_co_u32_e64 v0, s[0:1], s10, v0
	v_addc_co_u32_e64 v1, s[0:1], v1, v6, s[0:1]
	global_load_dword v6, v[0:1], off
	global_load_dword v31, v22, s[6:7] offset:800
	v_mov_b32_e32 v30, s2
	v_add_co_u32_e64 v0, s[0:1], s10, v0
	v_addc_co_u32_e64 v1, s[0:1], v1, v30, s[0:1]
	global_load_dword v32, v[0:1], off
	global_load_dword v33, v22, s[6:7] offset:880
	v_add_co_u32_e64 v0, s[0:1], s10, v0
	v_addc_co_u32_e64 v1, s[0:1], v1, v30, s[0:1]
	global_load_dword v30, v[0:1], off
	global_load_dword v34, v22, s[6:7] offset:960
	s_waitcnt vmcnt(25)
	v_lshrrev_b32_e32 v28, 16, v7
	s_waitcnt vmcnt(24)
	v_mul_f16_sdwa v29, v9, v7 dst_sel:DWORD dst_unused:UNUSED_PAD src0_sel:WORD_1 src1_sel:DWORD
	v_mul_f16_sdwa v1, v9, v28 dst_sel:DWORD dst_unused:UNUSED_PAD src0_sel:WORD_1 src1_sel:DWORD
	v_fma_f16 v0, v9, v28, -v29
	v_fma_f16 v1, v9, v7, v1
	v_pack_b32_f16 v0, v1, v0
	s_waitcnt vmcnt(16)
	v_lshrrev_b32_e32 v7, 16, v18
	v_mul_f16_sdwa v9, v10, v18 dst_sel:DWORD dst_unused:UNUSED_PAD src0_sel:WORD_1 src1_sel:DWORD
	v_fma_f16 v9, v10, v7, -v9
	v_mul_f16_sdwa v7, v10, v7 dst_sel:DWORD dst_unused:UNUSED_PAD src0_sel:WORD_1 src1_sel:DWORD
	v_fma_f16 v7, v10, v18, v7
	v_lshl_add_u32 v10, v21, 2, v24
	ds_write_b32 v10, v0
	s_waitcnt vmcnt(15)
	v_lshrrev_b32_e32 v0, 16, v19
	v_mul_f16_sdwa v1, v11, v19 dst_sel:DWORD dst_unused:UNUSED_PAD src0_sel:WORD_1 src1_sel:DWORD
	v_fma_f16 v1, v11, v0, -v1
	v_mul_f16_sdwa v0, v11, v0 dst_sel:DWORD dst_unused:UNUSED_PAD src0_sel:WORD_1 src1_sel:DWORD
	v_fma_f16 v0, v11, v19, v0
	v_pack_b32_f16 v7, v7, v9
	v_pack_b32_f16 v0, v0, v1
	v_add_u32_e32 v1, v24, v22
	ds_write2_b32 v1, v7, v0 offset0:20 offset1:40
	s_waitcnt vmcnt(14)
	v_lshrrev_b32_e32 v0, 16, v20
	v_mul_f16_sdwa v7, v12, v0 dst_sel:DWORD dst_unused:UNUSED_PAD src0_sel:WORD_1 src1_sel:DWORD
	v_mul_f16_sdwa v9, v12, v20 dst_sel:DWORD dst_unused:UNUSED_PAD src0_sel:WORD_1 src1_sel:DWORD
	v_fma_f16 v7, v12, v20, v7
	v_fma_f16 v0, v12, v0, -v9
	v_pack_b32_f16 v0, v7, v0
	s_waitcnt vmcnt(13)
	v_lshrrev_b32_e32 v7, 16, v4
	v_mul_f16_sdwa v9, v13, v7 dst_sel:DWORD dst_unused:UNUSED_PAD src0_sel:WORD_1 src1_sel:DWORD
	v_fma_f16 v9, v13, v4, v9
	v_mul_f16_sdwa v4, v13, v4 dst_sel:DWORD dst_unused:UNUSED_PAD src0_sel:WORD_1 src1_sel:DWORD
	v_fma_f16 v4, v13, v7, -v4
	v_pack_b32_f16 v4, v9, v4
	ds_write2_b32 v1, v0, v4 offset0:60 offset1:80
	s_waitcnt vmcnt(12)
	v_lshrrev_b32_e32 v0, 16, v26
	v_mul_f16_sdwa v4, v14, v0 dst_sel:DWORD dst_unused:UNUSED_PAD src0_sel:WORD_1 src1_sel:DWORD
	v_mul_f16_sdwa v7, v14, v26 dst_sel:DWORD dst_unused:UNUSED_PAD src0_sel:WORD_1 src1_sel:DWORD
	v_fma_f16 v4, v14, v26, v4
	v_fma_f16 v0, v14, v0, -v7
	v_pack_b32_f16 v0, v4, v0
	s_waitcnt vmcnt(11)
	v_lshrrev_b32_e32 v4, 16, v27
	v_mul_f16_sdwa v7, v15, v4 dst_sel:DWORD dst_unused:UNUSED_PAD src0_sel:WORD_1 src1_sel:DWORD
	v_mul_f16_sdwa v9, v15, v27 dst_sel:DWORD dst_unused:UNUSED_PAD src0_sel:WORD_1 src1_sel:DWORD
	v_fma_f16 v7, v15, v27, v7
	v_fma_f16 v4, v15, v4, -v9
	v_pack_b32_f16 v4, v7, v4
	ds_write2_b32 v1, v0, v4 offset0:100 offset1:120
	s_waitcnt vmcnt(10)
	v_lshrrev_b32_e32 v0, 16, v25
	v_mul_f16_sdwa v4, v16, v0 dst_sel:DWORD dst_unused:UNUSED_PAD src0_sel:WORD_1 src1_sel:DWORD
	v_mul_f16_sdwa v7, v16, v25 dst_sel:DWORD dst_unused:UNUSED_PAD src0_sel:WORD_1 src1_sel:DWORD
	v_fma_f16 v4, v16, v25, v4
	v_fma_f16 v0, v16, v0, -v7
	v_pack_b32_f16 v0, v4, v0
	s_waitcnt vmcnt(9)
	v_lshrrev_b32_e32 v4, 16, v2
	s_waitcnt vmcnt(8)
	v_mul_f16_sdwa v7, v3, v4 dst_sel:DWORD dst_unused:UNUSED_PAD src0_sel:WORD_1 src1_sel:DWORD
	v_fma_f16 v7, v3, v2, v7
	v_mul_f16_sdwa v2, v3, v2 dst_sel:DWORD dst_unused:UNUSED_PAD src0_sel:WORD_1 src1_sel:DWORD
	v_fma_f16 v2, v3, v4, -v2
	v_pack_b32_f16 v2, v7, v2
	ds_write2_b32 v1, v0, v2 offset0:140 offset1:160
	s_waitcnt vmcnt(6)
	v_lshrrev_b32_e32 v0, 16, v17
	v_mul_f16_sdwa v2, v5, v0 dst_sel:DWORD dst_unused:UNUSED_PAD src0_sel:WORD_1 src1_sel:DWORD
	v_mul_f16_sdwa v3, v5, v17 dst_sel:DWORD dst_unused:UNUSED_PAD src0_sel:WORD_1 src1_sel:DWORD
	v_fma_f16 v2, v5, v17, v2
	v_fma_f16 v0, v5, v0, -v3
	v_pack_b32_f16 v0, v2, v0
	s_waitcnt vmcnt(5)
	v_lshrrev_b32_e32 v2, 16, v6
	s_waitcnt vmcnt(4)
	v_mul_f16_sdwa v3, v31, v2 dst_sel:DWORD dst_unused:UNUSED_PAD src0_sel:WORD_1 src1_sel:DWORD
	v_mul_f16_sdwa v4, v31, v6 dst_sel:DWORD dst_unused:UNUSED_PAD src0_sel:WORD_1 src1_sel:DWORD
	v_fma_f16 v3, v31, v6, v3
	v_fma_f16 v2, v31, v2, -v4
	v_pack_b32_f16 v2, v3, v2
	ds_write2_b32 v1, v0, v2 offset0:180 offset1:200
	s_waitcnt vmcnt(3)
	v_lshrrev_b32_e32 v0, 16, v32
	s_waitcnt vmcnt(2)
	v_mul_f16_sdwa v2, v33, v0 dst_sel:DWORD dst_unused:UNUSED_PAD src0_sel:WORD_1 src1_sel:DWORD
	v_mul_f16_sdwa v3, v33, v32 dst_sel:DWORD dst_unused:UNUSED_PAD src0_sel:WORD_1 src1_sel:DWORD
	v_fma_f16 v2, v33, v32, v2
	v_fma_f16 v0, v33, v0, -v3
	v_pack_b32_f16 v0, v2, v0
	s_waitcnt vmcnt(1)
	v_lshrrev_b32_e32 v2, 16, v30
	s_waitcnt vmcnt(0)
	v_mul_f16_sdwa v3, v34, v2 dst_sel:DWORD dst_unused:UNUSED_PAD src0_sel:WORD_1 src1_sel:DWORD
	v_mul_f16_sdwa v4, v34, v30 dst_sel:DWORD dst_unused:UNUSED_PAD src0_sel:WORD_1 src1_sel:DWORD
	v_fma_f16 v3, v34, v30, v3
	v_fma_f16 v2, v34, v2, -v4
	v_pack_b32_f16 v2, v3, v2
	ds_write2_b32 v1, v0, v2 offset0:220 offset1:240
.LBB0_3:
	s_or_b64 exec, exec, s[14:15]
	s_load_dwordx2 s[0:1], s[4:5], 0x20
	s_load_dwordx2 s[2:3], s[4:5], 0x8
	v_mov_b32_e32 v0, 0
	s_waitcnt lgkmcnt(0)
	; wave barrier
	s_waitcnt lgkmcnt(0)
                                        ; implicit-def: $vgpr15
                                        ; implicit-def: $vgpr3
                                        ; implicit-def: $vgpr5
                                        ; implicit-def: $vgpr7
                                        ; implicit-def: $vgpr12
                                        ; implicit-def: $vgpr14
	s_and_saveexec_b64 s[4:5], vcc
	s_cbranch_execz .LBB0_5
; %bb.4:
	v_lshl_add_u32 v9, v23, 2, v22
	ds_read2_b32 v[0:1], v9 offset1:20
	ds_read2_b32 v[13:14], v9 offset0:40 offset1:60
	ds_read2_b32 v[11:12], v9 offset0:80 offset1:100
	;; [unrolled: 1-line block ×5, first 2 shown]
	ds_read_b32 v15, v9 offset:960
.LBB0_5:
	s_or_b64 exec, exec, s[4:5]
	s_waitcnt lgkmcnt(0)
	v_pk_add_f16 v16, v1, v15 neg_lo:[0,1] neg_hi:[0,1]
	s_mov_b32 s23, 0xb770
	v_pk_add_f16 v17, v15, v1
	s_movk_i32 s8, 0x3b15
	v_mul_f16_sdwa v28, v16, s23 dst_sel:DWORD dst_unused:UNUSED_PAD src0_sel:WORD_1 src1_sel:DWORD
	s_mov_b32 s22, 0xba95
	v_pk_add_f16 v18, v13, v3 neg_lo:[0,1] neg_hi:[0,1]
	v_fma_f16 v9, v17, s8, v28
	v_lshrrev_b32_e32 v37, 16, v17
	s_movk_i32 s9, 0x388b
	v_mul_f16_e32 v36, 0xba95, v16
	v_pk_add_f16 v19, v3, v13
	v_mul_f16_sdwa v33, v18, s22 dst_sel:DWORD dst_unused:UNUSED_PAD src0_sel:WORD_1 src1_sel:DWORD
	v_add_f16_e32 v9, v9, v0
	v_fma_f16 v10, v37, s9, -v36
	s_mov_b32 s20, 0xbbf1
	v_fma_f16 v20, v19, s9, v33
	v_lshrrev_b32_e32 v41, 16, v19
	s_mov_b32 s11, 0xb5ac
	v_mul_f16_e32 v42, 0xbb7b, v18
	v_add_f16_sdwa v10, v10, v0 dst_sel:DWORD dst_unused:UNUSED_PAD src0_sel:DWORD src1_sel:WORD_1
	s_movk_i32 s10, 0x2fb7
	v_mul_f16_sdwa v45, v16, s20 dst_sel:DWORD dst_unused:UNUSED_PAD src0_sel:WORD_1 src1_sel:DWORD
	v_add_f16_e32 v9, v20, v9
	v_fma_f16 v20, v41, s11, -v42
	s_mov_b32 s14, 0xb3a8
	v_add_f16_e32 v10, v20, v10
	v_fma_f16 v20, v17, s10, v45
	s_mov_b32 s15, 0xbbc4
	v_mul_f16_sdwa v49, v18, s14 dst_sel:DWORD dst_unused:UNUSED_PAD src0_sel:WORD_1 src1_sel:DWORD
	v_add_f16_e32 v20, v20, v0
	v_fma_f16 v25, v19, s15, v49
	v_mul_f16_e32 v56, 0xbbf1, v16
	v_add_f16_e32 v25, v25, v20
	v_fma_f16 v20, v37, s10, -v56
	v_mul_f16_e32 v57, 0xb3a8, v18
	v_add_f16_sdwa v20, v20, v0 dst_sel:DWORD dst_unused:UNUSED_PAD src0_sel:DWORD src1_sel:WORD_1
	v_fma_f16 v26, v41, s15, -v57
	v_add_f16_e32 v26, v26, v20
	v_pk_add_f16 v20, v14, v2 neg_lo:[0,1] neg_hi:[0,1]
	v_pk_add_f16 v31, v2, v14
	v_mul_f16_sdwa v38, v20, s20 dst_sel:DWORD dst_unused:UNUSED_PAD src0_sel:WORD_1 src1_sel:DWORD
	v_fma_f16 v27, v31, s10, v38
	v_lshrrev_b32_e32 v47, 16, v31
	v_mul_f16_e32 v46, 0xb3a8, v20
	s_movk_i32 s25, 0x3b7b
	v_add_f16_e32 v9, v27, v9
	v_fma_f16 v27, v47, s15, -v46
	v_mul_f16_sdwa v53, v20, s25 dst_sel:DWORD dst_unused:UNUSED_PAD src0_sel:WORD_1 src1_sel:DWORD
	v_add_f16_e32 v10, v27, v10
	v_fma_f16 v27, v31, s11, v53
	v_mul_f16_e32 v59, 0x3b7b, v20
	s_mov_b32 s16, 0xbb7b
	v_pk_add_f16 v32, v11, v5 neg_lo:[0,1] neg_hi:[0,1]
	v_add_f16_e32 v25, v27, v25
	v_fma_f16 v27, v47, s11, -v59
	v_pk_add_f16 v34, v5, v11
	v_mul_f16_sdwa v43, v32, s16 dst_sel:DWORD dst_unused:UNUSED_PAD src0_sel:WORD_1 src1_sel:DWORD
	v_add_f16_e32 v26, v27, v26
	v_fma_f16 v27, v34, s11, v43
	s_mov_b32 s18, 0xb9fd
	v_lshrrev_b32_e32 v50, 16, v34
	v_mul_f16_e32 v51, 0x394e, v32
	s_movk_i32 s17, 0x3770
	v_add_f16_e32 v9, v27, v9
	v_fma_f16 v27, v50, s18, -v51
	v_mul_f16_sdwa v58, v32, s17 dst_sel:DWORD dst_unused:UNUSED_PAD src0_sel:WORD_1 src1_sel:DWORD
	v_add_f16_e32 v10, v27, v10
	v_fma_f16 v27, v34, s8, v58
	v_mul_f16_e32 v66, 0x3770, v32
	s_mov_b32 s19, 0xb94e
	v_pk_add_f16 v35, v12, v4 neg_lo:[0,1] neg_hi:[0,1]
	v_add_f16_e32 v25, v27, v25
	v_fma_f16 v27, v50, s8, -v66
	v_pk_add_f16 v39, v4, v12
	v_mul_f16_sdwa v48, v35, s19 dst_sel:DWORD dst_unused:UNUSED_PAD src0_sel:WORD_1 src1_sel:DWORD
	v_add_f16_e32 v26, v27, v26
	v_fma_f16 v27, v39, s18, v48
	v_lshrrev_b32_e32 v55, 16, v39
	v_mul_f16_e32 v54, 0x3bf1, v35
	v_add_f16_e32 v9, v27, v9
	v_fma_f16 v27, v55, s10, -v54
	v_mul_f16_sdwa v62, v35, s22 dst_sel:DWORD dst_unused:UNUSED_PAD src0_sel:WORD_1 src1_sel:DWORD
	v_add_f16_e32 v27, v27, v10
	v_fma_f16 v10, v39, s9, v62
	v_mul_f16_e32 v75, 0xba95, v35
	v_pk_add_f16 v40, v6, v7 neg_lo:[0,1] neg_hi:[0,1]
	s_mov_b32 s4, 0x3b15388b
	v_add_f16_e32 v10, v10, v25
	v_fma_f16 v25, v55, s9, -v75
	v_pk_add_f16 v44, v7, v6
	v_mul_f16_sdwa v52, v40, s14 dst_sel:DWORD dst_unused:UNUSED_PAD src0_sel:WORD_1 src1_sel:DWORD
	s_mov_b32 s5, 0xba95b770
	s_mov_b32 s21, 0x388bb5ac
	v_pk_mul_f16 v30, v17, s4
	v_add_f16_e32 v25, v25, v26
	v_fma_f16 v26, v44, s15, v52
	s_mov_b32 s24, 0xbb7bba95
	s_mov_b32 s26, 0x2fb7bbc4
	v_pk_fma_f16 v60, v16, s5, v30 op_sel:[0,0,1] op_sel_hi:[1,1,0]
	v_pk_mul_f16 v71, v19, s21
	v_add_f16_e32 v26, v26, v9
	s_mov_b32 s27, 0xb3a8bbf1
	s_mov_b32 s28, 0xb5acb9fd
	v_pk_fma_f16 v61, v18, s24, v71 op_sel:[0,0,1] op_sel_hi:[1,1,0]
	v_add_f16_sdwa v9, v60, v0 dst_sel:DWORD dst_unused:UNUSED_PAD src0_sel:WORD_1 src1_sel:DWORD
	v_pk_mul_f16 v72, v31, s26
	s_mov_b32 s29, 0x394ebb7b
	s_mov_b32 s30, 0xb9fd2fb7
	v_add_f16_sdwa v9, v61, v9 dst_sel:DWORD dst_unused:UNUSED_PAD src0_sel:WORD_1 src1_sel:DWORD
	v_pk_fma_f16 v63, v20, s27, v72 op_sel:[0,0,1] op_sel_hi:[1,1,0]
	v_pk_mul_f16 v73, v34, s28
	s_mov_b32 s31, 0x3bf1b94e
	s_mov_b32 s33, 0xbbc43b15
	v_add_f16_sdwa v9, v63, v9 dst_sel:DWORD dst_unused:UNUSED_PAD src0_sel:WORD_1 src1_sel:DWORD
	v_pk_fma_f16 v64, v32, s29, v73 op_sel:[0,0,1] op_sel_hi:[1,1,0]
	v_pk_mul_f16 v74, v39, s30
	s_mov_b32 s34, 0x3770b3a8
	v_add_f16_sdwa v9, v64, v9 dst_sel:DWORD dst_unused:UNUSED_PAD src0_sel:WORD_1 src1_sel:DWORD
	v_pk_fma_f16 v65, v35, s31, v74 op_sel:[0,0,1] op_sel_hi:[1,1,0]
	v_mul_f16_sdwa v77, v40, s19 dst_sel:DWORD dst_unused:UNUSED_PAD src0_sel:WORD_1 src1_sel:DWORD
	v_pk_mul_f16 v76, v44, s33
	v_add_f16_sdwa v29, v65, v9 dst_sel:DWORD dst_unused:UNUSED_PAD src0_sel:WORD_1 src1_sel:DWORD
	v_fma_f16 v9, v44, s18, v77
	v_pk_fma_f16 v67, v40, s34, v76 op_sel:[0,0,1] op_sel_hi:[1,1,0]
	v_lshrrev_b32_e32 v69, 16, v44
	v_mul_f16_e32 v68, 0x3770, v40
	v_add_f16_e32 v9, v9, v10
	v_add_f16_sdwa v10, v67, v29 dst_sel:DWORD dst_unused:UNUSED_PAD src0_sel:WORD_1 src1_sel:DWORD
	v_fma_f16 v29, v69, s8, -v68
	v_mul_f16_e32 v78, 0xb94e, v40
	v_add_f16_e32 v27, v29, v27
	v_fma_f16 v29, v69, s18, -v78
	v_pk_fma_f16 v70, v16, s5, v30 op_sel:[0,0,1] op_sel_hi:[1,1,0] neg_lo:[1,0,0] neg_hi:[1,0,0]
	v_add_f16_e32 v29, v29, v25
	v_pk_fma_f16 v71, v18, s24, v71 op_sel:[0,0,1] op_sel_hi:[1,1,0] neg_lo:[1,0,0] neg_hi:[1,0,0]
	v_add_f16_sdwa v25, v70, v0 dst_sel:DWORD dst_unused:UNUSED_PAD src0_sel:DWORD src1_sel:WORD_1
	v_pk_fma_f16 v72, v20, s27, v72 op_sel:[0,0,1] op_sel_hi:[1,1,0] neg_lo:[1,0,0] neg_hi:[1,0,0]
	v_add_f16_e32 v25, v71, v25
	v_pk_fma_f16 v73, v32, s29, v73 op_sel:[0,0,1] op_sel_hi:[1,1,0] neg_lo:[1,0,0] neg_hi:[1,0,0]
	v_add_f16_e32 v25, v72, v25
	;; [unrolled: 2-line block ×4, first 2 shown]
	s_movk_i32 s26, 0x394e
	s_movk_i32 s21, 0x3bf1
	v_add_f16_e32 v30, v76, v25
	v_mul_lo_u16_e32 v25, 13, v21
	s_waitcnt lgkmcnt(0)
	; wave barrier
	s_and_saveexec_b64 s[4:5], vcc
	s_cbranch_execz .LBB0_7
; %bb.6:
	v_mul_f16_e32 v79, 0xb5ac, v37
	v_fma_f16 v80, v16, s25, v79
	v_mul_f16_e32 v81, 0xb9fd, v41
	v_add_f16_sdwa v80, v80, v0 dst_sel:DWORD dst_unused:UNUSED_PAD src0_sel:DWORD src1_sel:WORD_1
	v_fma_f16 v82, v18, s19, v81
	v_add_f16_e32 v80, v82, v80
	v_mul_f16_e32 v82, 0x3b15, v47
	v_fma_f16 v83, v20, s23, v82
	v_add_f16_e32 v80, v83, v80
	v_mul_f16_e32 v83, 0x2fb7, v50
	;; [unrolled: 3-line block ×4, first 2 shown]
	v_fma_f16 v86, v40, s22, v85
	v_fma_f16 v79, v16, s16, v79
	v_add_f16_e32 v80, v86, v80
	v_mul_f16_sdwa v86, v16, s16 dst_sel:DWORD dst_unused:UNUSED_PAD src0_sel:WORD_1 src1_sel:DWORD
	v_add_f16_sdwa v79, v79, v0 dst_sel:DWORD dst_unused:UNUSED_PAD src0_sel:DWORD src1_sel:WORD_1
	v_fma_f16 v81, v18, s26, v81
	v_fma_f16 v87, v17, s11, v86
	v_mul_f16_sdwa v88, v18, s26 dst_sel:DWORD dst_unused:UNUSED_PAD src0_sel:WORD_1 src1_sel:DWORD
	v_add_f16_e32 v79, v81, v79
	v_fma_f16 v81, v20, s17, v82
	v_add_f16_e32 v87, v87, v0
	v_fma_f16 v89, v19, s18, v88
	s_movk_i32 s27, 0x33a8
	v_add_f16_e32 v79, v81, v79
	v_fma_f16 v81, v32, s20, v83
	v_add_f16_e32 v87, v89, v87
	v_mul_f16_sdwa v89, v20, s17 dst_sel:DWORD dst_unused:UNUSED_PAD src0_sel:WORD_1 src1_sel:DWORD
	s_movk_i32 s24, 0x3a95
	v_add_f16_e32 v79, v81, v79
	v_fma_f16 v81, v35, s27, v84
	v_fma_f16 v90, v31, s8, v89
	v_add_f16_e32 v79, v81, v79
	v_fma_f16 v81, v40, s24, v85
	v_add_f16_e32 v87, v90, v87
	v_mul_f16_sdwa v90, v32, s20 dst_sel:DWORD dst_unused:UNUSED_PAD src0_sel:WORD_1 src1_sel:DWORD
	v_add_f16_e32 v79, v81, v79
	v_fma_f16 v81, v17, s11, -v86
	v_fma_f16 v91, v34, s10, v90
	v_add_f16_e32 v81, v81, v0
	v_fma_f16 v82, v19, s18, -v88
	v_add_f16_e32 v87, v91, v87
	v_mul_f16_sdwa v91, v35, s27 dst_sel:DWORD dst_unused:UNUSED_PAD src0_sel:WORD_1 src1_sel:DWORD
	v_add_f16_e32 v81, v82, v81
	v_fma_f16 v82, v31, s8, -v89
	v_fma_f16 v92, v39, s15, v91
	v_add_f16_e32 v81, v82, v81
	v_fma_f16 v82, v34, s10, -v90
	v_add_f16_e32 v87, v92, v87
	v_mul_f16_sdwa v92, v40, s24 dst_sel:DWORD dst_unused:UNUSED_PAD src0_sel:WORD_1 src1_sel:DWORD
	v_add_f16_e32 v81, v82, v81
	v_fma_f16 v82, v39, s15, -v91
	v_add_f16_e32 v81, v82, v81
	v_fma_f16 v82, v44, s9, -v92
	v_add_f16_e32 v81, v82, v81
	v_mul_f16_e32 v82, 0x2fb7, v37
	v_add_f16_e32 v56, v56, v82
	v_mul_f16_e32 v82, 0xbbc4, v41
	v_add_f16_e32 v57, v57, v82
	v_add_f16_sdwa v56, v56, v0 dst_sel:DWORD dst_unused:UNUSED_PAD src0_sel:DWORD src1_sel:WORD_1
	v_add_f16_e32 v56, v57, v56
	v_mul_f16_e32 v57, 0xb5ac, v47
	v_add_f16_e32 v57, v59, v57
	v_add_f16_e32 v56, v57, v56
	v_mul_f16_e32 v57, 0x3b15, v50
	v_add_f16_e32 v57, v66, v57
	;; [unrolled: 3-line block ×4, first 2 shown]
	v_fma_f16 v93, v44, s9, v92
	v_add_f16_e32 v56, v57, v56
	v_mul_f16_e32 v57, 0x2fb7, v17
	v_add_f16_e32 v87, v93, v87
	v_mul_f16_e32 v93, 0xb9fd, v37
	v_sub_f16_e32 v45, v57, v45
	v_mul_f16_e32 v57, 0xbbc4, v19
	v_fma_f16 v94, v16, s26, v93
	v_mul_f16_e32 v95, 0x2fb7, v41
	v_sub_f16_e32 v49, v57, v49
	v_add_f16_e32 v45, v45, v0
	v_add_f16_sdwa v94, v94, v0 dst_sel:DWORD dst_unused:UNUSED_PAD src0_sel:DWORD src1_sel:WORD_1
	v_fma_f16 v96, v18, s20, v95
	v_add_f16_e32 v45, v49, v45
	v_mul_f16_e32 v49, 0xb5ac, v31
	v_add_f16_e32 v94, v96, v94
	v_mul_f16_e32 v96, 0x388b, v47
	v_sub_f16_e32 v49, v49, v53
	v_fma_f16 v97, v20, s24, v96
	v_add_f16_e32 v45, v49, v45
	v_mul_f16_e32 v49, 0x3b15, v34
	v_mul_f16_e32 v37, 0x388b, v37
	v_add_f16_e32 v94, v97, v94
	v_mul_f16_e32 v97, 0xbbc4, v50
	v_sub_f16_e32 v49, v49, v58
	v_add_f16_e32 v36, v36, v37
	v_alignbit_b32 v37, v0, v0, 16
	v_fma_f16 v98, v32, s14, v97
	v_add_f16_e32 v45, v49, v45
	v_mul_f16_e32 v49, 0x388b, v39
	v_pk_add_f16 v1, v1, v37 op_sel:[0,1] op_sel_hi:[1,0]
	v_add_f16_e32 v94, v98, v94
	v_mul_f16_e32 v98, 0x3b15, v55
	v_sub_f16_e32 v49, v49, v62
	v_pk_add_f16 v1, v13, v1
	v_fma_f16 v99, v35, s23, v98
	v_fma_f16 v93, v16, s19, v93
	v_add_f16_e32 v45, v49, v45
	v_mul_f16_e32 v49, 0xb9fd, v44
	v_mul_f16_e32 v41, 0xb5ac, v41
	v_pk_add_f16 v1, v14, v1
	v_add_f16_e32 v94, v99, v94
	v_mul_f16_e32 v99, 0xb5ac, v69
	v_add_f16_sdwa v93, v93, v0 dst_sel:DWORD dst_unused:UNUSED_PAD src0_sel:DWORD src1_sel:WORD_1
	v_fma_f16 v95, v18, s21, v95
	v_sub_f16_e32 v49, v49, v77
	v_add_f16_e32 v41, v42, v41
	v_add_f16_sdwa v36, v36, v0 dst_sel:DWORD dst_unused:UNUSED_PAD src0_sel:DWORD src1_sel:WORD_1
	v_mul_f16_e32 v47, 0xbbc4, v47
	v_pk_add_f16 v1, v11, v1
	v_fma_f16 v100, v40, s25, v99
	v_add_f16_e32 v93, v95, v93
	v_fma_f16 v95, v20, s22, v96
	v_add_f16_e32 v45, v49, v45
	v_add_f16_e32 v36, v41, v36
	;; [unrolled: 1-line block ×3, first 2 shown]
	v_mul_f16_e32 v49, 0xb9fd, v50
	v_pk_add_f16 v1, v12, v1
	v_add_f16_e32 v94, v100, v94
	v_mul_f16_sdwa v100, v16, s19 dst_sel:DWORD dst_unused:UNUSED_PAD src0_sel:WORD_1 src1_sel:DWORD
	v_add_f16_e32 v93, v95, v93
	v_fma_f16 v95, v32, s27, v97
	v_add_f16_e32 v36, v46, v36
	v_add_f16_e32 v49, v51, v49
	v_mul_f16_e32 v51, 0x2fb7, v55
	v_pk_add_f16 v1, v6, v1
	v_fma_f16 v101, v17, s18, v100
	v_mul_f16_sdwa v102, v18, s21 dst_sel:DWORD dst_unused:UNUSED_PAD src0_sel:WORD_1 src1_sel:DWORD
	v_add_f16_e32 v93, v95, v93
	v_fma_f16 v95, v35, s17, v98
	v_add_f16_e32 v36, v49, v36
	v_mul_f16_e32 v53, 0x3b15, v69
	v_add_f16_e32 v51, v54, v51
	v_pk_add_f16 v1, v7, v1
	v_add_f16_e32 v101, v101, v0
	v_fma_f16 v103, v19, s10, v102
	v_add_f16_e32 v93, v95, v93
	v_fma_f16 v95, v40, s16, v99
	v_mul_f16_e32 v42, 0x3b15, v17
	v_add_f16_e32 v36, v51, v36
	v_add_f16_e32 v51, v68, v53
	s_mov_b32 s20, 0xffff
	v_pk_add_f16 v1, v4, v1
	v_add_f16_e32 v101, v103, v101
	v_mul_f16_sdwa v103, v20, s22 dst_sel:DWORD dst_unused:UNUSED_PAD src0_sel:WORD_1 src1_sel:DWORD
	v_add_f16_e32 v93, v95, v93
	v_fma_f16 v95, v17, s18, -v100
	v_mul_f16_e32 v41, 0x388b, v19
	v_add_f16_e32 v36, v51, v36
	v_bfi_b32 v51, s20, v60, v70
	v_sub_f16_e32 v28, v42, v28
	v_pk_add_f16 v1, v5, v1
	v_fma_f16 v104, v31, s9, v103
	v_add_f16_e32 v95, v95, v0
	v_mul_f16_e32 v47, 0x2fb7, v31
	v_bfi_b32 v53, s20, v61, v71
	v_add_f16_e32 v0, v28, v0
	v_sub_f16_e32 v28, v41, v33
	v_pk_add_f16 v1, v2, v1
	v_pk_add_f16 v2, v51, v37
	v_add_f16_e32 v101, v104, v101
	v_mul_f16_sdwa v104, v32, s27 dst_sel:DWORD dst_unused:UNUSED_PAD src0_sel:WORD_1 src1_sel:DWORD
	v_mul_f16_e32 v46, 0xb5ac, v34
	v_bfi_b32 v54, s20, v63, v72
	v_add_f16_e32 v0, v28, v0
	v_sub_f16_e32 v28, v47, v38
	v_pk_add_f16 v2, v53, v2
	v_fma_f16 v105, v34, s15, v104
	v_fma_f16 v96, v19, s10, -v102
	v_mul_f16_e32 v50, 0xb9fd, v39
	v_bfi_b32 v55, s20, v64, v73
	v_add_f16_e32 v0, v28, v0
	v_sub_f16_e32 v28, v46, v43
	v_pk_add_f16 v2, v54, v2
	v_add_f16_e32 v101, v105, v101
	v_mul_f16_sdwa v105, v35, s17 dst_sel:DWORD dst_unused:UNUSED_PAD src0_sel:WORD_1 src1_sel:DWORD
	v_add_f16_e32 v95, v96, v95
	v_fma_f16 v96, v31, s9, -v103
	v_mul_f16_e32 v49, 0xbbc4, v44
	v_bfi_b32 v57, s20, v65, v74
	v_add_f16_e32 v0, v28, v0
	v_sub_f16_e32 v28, v50, v48
	v_pk_add_f16 v2, v55, v2
	v_fma_f16 v106, v39, s8, v105
	v_add_f16_e32 v95, v96, v95
	v_fma_f16 v96, v34, s15, -v104
	v_bfi_b32 v58, s20, v67, v76
	v_add_f16_e32 v0, v28, v0
	v_sub_f16_e32 v28, v49, v52
	v_pk_add_f16 v2, v57, v2
	v_add_f16_e32 v101, v106, v101
	v_mul_f16_sdwa v106, v40, s16 dst_sel:DWORD dst_unused:UNUSED_PAD src0_sel:WORD_1 src1_sel:DWORD
	v_add_f16_e32 v95, v96, v95
	v_fma_f16 v96, v39, s8, -v105
	v_add_f16_e32 v0, v28, v0
	v_pk_add_f16 v2, v58, v2
	v_add_f16_e32 v95, v96, v95
	v_fma_f16 v96, v44, s11, -v106
	v_add_lshl_u32 v28, v23, v25, 2
	v_pk_add_f16 v1, v3, v1
	v_alignbit_b32 v3, v36, v2, 16
	v_pack_b32_f16 v0, v0, v2
	v_add_f16_e32 v95, v96, v95
	ds_write2_b32 v28, v0, v3 offset0:1 offset1:2
	v_pack_b32_f16 v0, v45, v56
	v_pack_b32_f16 v2, v81, v79
	v_pk_add_f16 v1, v15, v1
	ds_write2_b32 v28, v0, v2 offset0:3 offset1:4
	v_pack_b32_f16 v0, v95, v93
	ds_write2_b32 v28, v1, v0 offset1:5
	v_pk_mul_f16 v0, v17, s15 op_sel_hi:[1,0]
	v_pk_fma_f16 v1, v16, s14, v0 op_sel:[0,0,1] op_sel_hi:[1,0,0] neg_lo:[1,0,0] neg_hi:[1,0,0]
	v_pk_mul_f16 v2, v19, s8 op_sel_hi:[1,0]
	v_pk_add_f16 v1, v1, v37
	v_pk_fma_f16 v3, v18, s17, v2 op_sel:[0,0,1] op_sel_hi:[1,0,0] neg_lo:[1,0,0] neg_hi:[1,0,0]
	v_pk_add_f16 v1, v3, v1
	v_pk_mul_f16 v3, v31, s18 op_sel_hi:[1,0]
	v_pk_fma_f16 v4, v20, s19, v3 op_sel:[0,0,1] op_sel_hi:[1,0,0] neg_lo:[1,0,0] neg_hi:[1,0,0]
	v_pk_add_f16 v1, v4, v1
	v_pk_mul_f16 v4, v34, s9 op_sel_hi:[1,0]
	v_pk_fma_f16 v0, v16, s14, v0 op_sel:[0,0,1] op_sel_hi:[1,0,0]
	v_pk_fma_f16 v5, v32, s24, v4 op_sel:[0,0,1] op_sel_hi:[1,0,0] neg_lo:[1,0,0] neg_hi:[1,0,0]
	v_pk_add_f16 v0, v0, v37
	v_pk_fma_f16 v2, v18, s17, v2 op_sel:[0,0,1] op_sel_hi:[1,0,0]
	v_pk_add_f16 v1, v5, v1
	v_pk_mul_f16 v5, v39, s11 op_sel_hi:[1,0]
	v_pk_add_f16 v0, v2, v0
	v_pk_fma_f16 v2, v20, s19, v3 op_sel:[0,0,1] op_sel_hi:[1,0,0]
	v_pk_fma_f16 v6, v35, s16, v5 op_sel:[0,0,1] op_sel_hi:[1,0,0] neg_lo:[1,0,0] neg_hi:[1,0,0]
	v_pk_add_f16 v0, v2, v0
	v_pk_fma_f16 v2, v32, s24, v4 op_sel:[0,0,1] op_sel_hi:[1,0,0]
	v_pk_add_f16 v1, v6, v1
	v_pk_mul_f16 v6, v44, s10 op_sel_hi:[1,0]
	v_pk_add_f16 v0, v2, v0
	v_pk_fma_f16 v2, v35, s16, v5 op_sel:[0,0,1] op_sel_hi:[1,0,0]
	v_pk_fma_f16 v7, v40, s21, v6 op_sel:[0,0,1] op_sel_hi:[1,0,0] neg_lo:[1,0,0] neg_hi:[1,0,0]
	v_pk_add_f16 v0, v2, v0
	v_pk_fma_f16 v2, v40, s21, v6 op_sel:[0,0,1] op_sel_hi:[1,0,0]
	v_fma_f16 v107, v44, s11, v106
	v_pk_add_f16 v1, v7, v1
	v_pk_add_f16 v0, v2, v0
	v_add_f16_e32 v101, v107, v101
	v_alignbit_b32 v2, v1, v0, 16
	v_alignbit_b32 v0, v0, v1, 16
	ds_write2_b32 v28, v0, v2 offset0:6 offset1:7
	v_pack_b32_f16 v0, v87, v80
	v_pack_b32_f16 v1, v101, v94
	s_mov_b32 s8, 0x5040100
	ds_write2_b32 v28, v1, v0 offset0:8 offset1:9
	v_perm_b32 v0, v27, v10, s8
	v_perm_b32 v1, v29, v9, s8
	ds_write2_b32 v28, v1, v0 offset0:10 offset1:11
	v_perm_b32 v0, v30, v26, s8
	ds_write_b32 v28, v0 offset:48
.LBB0_7:
	s_or_b64 exec, exec, s[4:5]
	s_load_dwordx4 s[8:11], s[0:1], 0x0
	v_add_u32_e32 v0, -13, v21
	v_cmp_gt_u16_e64 s[0:1], 13, v21
	v_cndmask_b32_e64 v31, v0, v21, s[0:1]
	v_mul_i32_i24_e32 v1, 36, v31
	v_mul_hi_i32_i24_e32 v0, 36, v31
	v_mov_b32_e32 v2, s3
	v_add_co_u32_e64 v11, s[0:1], s2, v1
	v_addc_co_u32_e64 v12, s[0:1], v2, v0, s[0:1]
	s_waitcnt lgkmcnt(0)
	; wave barrier
	s_waitcnt lgkmcnt(0)
	global_load_dwordx4 v[0:3], v[11:12], off
	global_load_dwordx4 v[4:7], v[11:12], off offset:16
	global_load_dword v32, v[11:12], off offset:32
	v_add_lshl_u32 v28, v23, v21, 2
	ds_read2_b32 v[11:12], v28 offset1:26
	ds_read2_b32 v[13:14], v28 offset0:52 offset1:78
	ds_read2_b32 v[15:16], v28 offset0:104 offset1:130
	;; [unrolled: 1-line block ×4, first 2 shown]
	s_waitcnt lgkmcnt(4)
	v_lshrrev_b32_e32 v34, 16, v12
	s_waitcnt lgkmcnt(3)
	v_lshrrev_b32_e32 v35, 16, v13
	;; [unrolled: 2-line block ×5, first 2 shown]
	v_lshrrev_b32_e32 v36, 16, v14
	s_movk_i32 s0, 0x3b9c
	s_mov_b32 s5, 0xbb9c
	s_movk_i32 s1, 0x38b4
	s_mov_b32 s14, 0xb8b4
	s_movk_i32 s4, 0x34f2
	v_lshrrev_b32_e32 v33, 16, v11
	v_lshrrev_b32_e32 v38, 16, v16
	;; [unrolled: 1-line block ×4, first 2 shown]
	s_movk_i32 s15, 0x3a79
	s_waitcnt lgkmcnt(0)
	; wave barrier
	s_waitcnt vmcnt(2)
	v_mul_f16_sdwa v49, v37, v3 dst_sel:DWORD dst_unused:UNUSED_PAD src0_sel:DWORD src1_sel:WORD_1
	s_waitcnt vmcnt(1)
	v_mul_f16_sdwa v53, v39, v5 dst_sel:DWORD dst_unused:UNUSED_PAD src0_sel:DWORD src1_sel:WORD_1
	v_mul_f16_sdwa v44, v12, v0 dst_sel:DWORD dst_unused:UNUSED_PAD src0_sel:DWORD src1_sel:WORD_1
	;; [unrolled: 1-line block ×8, first 2 shown]
	v_fma_f16 v15, v15, v3, -v49
	v_fma_f16 v17, v17, v5, -v53
	v_mul_f16_sdwa v43, v34, v0 dst_sel:DWORD dst_unused:UNUSED_PAD src0_sel:DWORD src1_sel:WORD_1
	v_mul_f16_sdwa v47, v36, v2 dst_sel:DWORD dst_unused:UNUSED_PAD src0_sel:DWORD src1_sel:WORD_1
	;; [unrolled: 1-line block ×3, first 2 shown]
	v_fma_f16 v34, v34, v0, v44
	v_fma_f16 v13, v13, v1, -v45
	v_fma_f16 v35, v35, v1, v46
	v_fma_f16 v19, v19, v7, -v57
	v_fma_f16 v41, v41, v7, v58
	v_add_f16_e32 v44, v15, v17
	v_fma_f16 v14, v14, v2, -v47
	v_fma_f16 v36, v36, v2, v48
	v_fma_f16 v37, v37, v3, v50
	;; [unrolled: 1-line block ×3, first 2 shown]
	v_sub_f16_e32 v45, v35, v41
	v_sub_f16_e32 v47, v13, v15
	;; [unrolled: 1-line block ×3, first 2 shown]
	v_fma_f16 v44, v44, -0.5, v11
	v_sub_f16_e32 v46, v37, v39
	v_add_f16_e32 v49, v13, v19
	v_add_f16_e32 v47, v47, v48
	v_fma_f16 v48, v45, s0, v44
	v_fma_f16 v44, v45, s5, v44
	v_fma_f16 v12, v12, v0, -v43
	v_add_f16_e32 v43, v11, v13
	v_fma_f16 v48, v46, s1, v48
	v_fma_f16 v44, v46, s14, v44
	v_fma_f16 v11, v49, -0.5, v11
	v_add_f16_e32 v43, v43, v15
	v_fma_f16 v48, v47, s4, v48
	v_fma_f16 v44, v47, s4, v44
	;; [unrolled: 1-line block ×4, first 2 shown]
	v_add_f16_e32 v46, v37, v39
	v_add_f16_e32 v43, v43, v17
	v_sub_f16_e32 v49, v15, v13
	v_sub_f16_e32 v50, v17, v19
	v_fma_f16 v46, v46, -0.5, v33
	v_sub_f16_e32 v13, v13, v19
	v_add_f16_e32 v43, v43, v19
	v_fma_f16 v47, v45, s1, v47
	v_add_f16_e32 v49, v49, v50
	v_fma_f16 v11, v45, s14, v11
	v_fma_f16 v19, v13, s5, v46
	v_sub_f16_e32 v15, v15, v17
	v_fma_f16 v47, v49, s4, v47
	v_fma_f16 v11, v49, s4, v11
	v_fma_f16 v17, v15, s14, v19
	v_sub_f16_e32 v19, v35, v37
	v_sub_f16_e32 v49, v41, v39
	v_fma_f16 v46, v13, s0, v46
	v_add_f16_e32 v19, v19, v49
	v_fma_f16 v46, v15, s1, v46
	v_fma_f16 v17, v19, s4, v17
	;; [unrolled: 1-line block ×3, first 2 shown]
	v_add_f16_e32 v46, v35, v41
	v_mul_f16_sdwa v51, v38, v4 dst_sel:DWORD dst_unused:UNUSED_PAD src0_sel:DWORD src1_sel:WORD_1
	v_mul_f16_sdwa v55, v40, v6 dst_sel:DWORD dst_unused:UNUSED_PAD src0_sel:DWORD src1_sel:WORD_1
	v_add_f16_e32 v45, v33, v35
	v_fma_f16 v33, v46, -0.5, v33
	v_mul_f16_sdwa v52, v16, v4 dst_sel:DWORD dst_unused:UNUSED_PAD src0_sel:DWORD src1_sel:WORD_1
	v_mul_f16_sdwa v56, v18, v6 dst_sel:DWORD dst_unused:UNUSED_PAD src0_sel:DWORD src1_sel:WORD_1
	s_waitcnt vmcnt(0)
	v_mul_f16_sdwa v60, v20, v32 dst_sel:DWORD dst_unused:UNUSED_PAD src0_sel:DWORD src1_sel:WORD_1
	v_fma_f16 v16, v16, v4, -v51
	v_fma_f16 v18, v18, v6, -v55
	v_add_f16_e32 v45, v45, v37
	v_fma_f16 v46, v15, s0, v33
	v_sub_f16_e32 v35, v37, v35
	v_sub_f16_e32 v37, v39, v41
	v_fma_f16 v15, v15, s5, v33
	v_mul_f16_sdwa v59, v42, v32 dst_sel:DWORD dst_unused:UNUSED_PAD src0_sel:DWORD src1_sel:WORD_1
	v_fma_f16 v42, v42, v32, v60
	v_fma_f16 v46, v13, s14, v46
	v_add_f16_e32 v35, v35, v37
	v_fma_f16 v13, v13, s1, v15
	v_add_f16_e32 v33, v16, v18
	v_fma_f16 v38, v38, v4, v52
	v_fma_f16 v40, v40, v6, v56
	v_fma_f16 v20, v20, v32, -v59
	v_add_f16_e32 v45, v45, v39
	v_fma_f16 v37, v35, s4, v46
	v_fma_f16 v13, v35, s4, v13
	v_fma_f16 v33, v33, -0.5, v12
	v_sub_f16_e32 v35, v36, v42
	v_add_f16_e32 v45, v45, v41
	v_fma_f16 v39, v35, s0, v33
	v_sub_f16_e32 v41, v38, v40
	v_sub_f16_e32 v46, v14, v16
	;; [unrolled: 1-line block ×3, first 2 shown]
	v_fma_f16 v33, v35, s5, v33
	v_fma_f16 v39, v41, s1, v39
	v_add_f16_e32 v46, v46, v49
	v_fma_f16 v33, v41, s14, v33
	v_fma_f16 v39, v46, s4, v39
	;; [unrolled: 1-line block ×3, first 2 shown]
	v_add_f16_e32 v46, v14, v20
	v_add_f16_e32 v15, v12, v14
	v_fma_f16 v12, v46, -0.5, v12
	v_add_f16_e32 v15, v15, v16
	v_fma_f16 v46, v41, s5, v12
	v_fma_f16 v12, v41, s0, v12
	v_add_f16_e32 v41, v38, v40
	v_add_f16_e32 v15, v15, v18
	v_sub_f16_e32 v49, v16, v14
	v_sub_f16_e32 v50, v18, v20
	v_fma_f16 v41, v41, -0.5, v34
	v_sub_f16_e32 v14, v14, v20
	v_add_f16_e32 v15, v15, v20
	v_fma_f16 v46, v35, s1, v46
	v_add_f16_e32 v49, v49, v50
	v_fma_f16 v12, v35, s14, v12
	v_fma_f16 v20, v14, s5, v41
	v_sub_f16_e32 v16, v16, v18
	v_fma_f16 v46, v49, s4, v46
	v_fma_f16 v12, v49, s4, v12
	;; [unrolled: 1-line block ×3, first 2 shown]
	v_sub_f16_e32 v20, v36, v38
	v_sub_f16_e32 v49, v42, v40
	v_fma_f16 v41, v14, s0, v41
	v_add_f16_e32 v20, v20, v49
	v_fma_f16 v41, v16, s1, v41
	v_fma_f16 v18, v20, s4, v18
	;; [unrolled: 1-line block ×3, first 2 shown]
	v_add_f16_e32 v41, v36, v42
	v_add_f16_e32 v35, v34, v36
	v_fma_f16 v34, v41, -0.5, v34
	v_add_f16_e32 v35, v35, v38
	v_fma_f16 v41, v16, s0, v34
	v_sub_f16_e32 v36, v38, v36
	v_sub_f16_e32 v38, v40, v42
	v_fma_f16 v16, v16, s5, v34
	v_add_f16_e32 v35, v35, v40
	v_fma_f16 v41, v14, s14, v41
	v_add_f16_e32 v36, v36, v38
	;; [unrolled: 2-line block ×3, first 2 shown]
	v_fma_f16 v14, v36, s4, v14
	v_mul_f16_e32 v42, 0x34f2, v12
	v_mul_f16_e32 v50, 0x3a79, v33
	v_fma_f16 v42, v14, s0, -v42
	v_fma_f16 v50, v20, s1, -v50
	v_mul_f16_e32 v14, 0x34f2, v14
	v_mul_f16_e32 v20, 0x3a79, v20
	v_fma_f16 v38, v36, s4, v41
	v_mul_f16_e32 v34, 0x38b4, v18
	v_fma_f16 v12, v12, s5, -v14
	v_fma_f16 v20, v33, s14, -v20
	v_fma_f16 v34, v39, s15, v34
	v_mul_f16_e32 v40, 0x3b9c, v38
	v_mul_f16_e32 v39, 0xb8b4, v39
	v_add_f16_e32 v14, v13, v12
	v_add_f16_e32 v53, v19, v20
	v_sub_f16_e32 v12, v13, v12
	v_sub_f16_e32 v13, v19, v20
	v_mov_b32_e32 v19, 0x82
	v_cmp_lt_u16_e64 s[0:1], 12, v21
	v_fma_f16 v40, v46, s4, v40
	v_fma_f16 v18, v18, s15, v39
	v_mul_f16_e32 v46, 0xbb9c, v46
	v_cndmask_b32_e64 v19, 0, v19, s[0:1]
	v_add_f16_e32 v16, v43, v15
	v_add_f16_e32 v36, v48, v34
	;; [unrolled: 1-line block ×4, first 2 shown]
	v_fma_f16 v38, v38, s4, v46
	v_add_u32_e32 v19, v31, v19
	v_add_f16_e32 v41, v47, v40
	v_add_f16_e32 v49, v11, v42
	;; [unrolled: 1-line block ×3, first 2 shown]
	v_add_lshl_u32 v33, v23, v19, 2
	v_pack_b32_f16 v16, v16, v52
	v_pack_b32_f16 v19, v36, v39
	v_add_f16_e32 v51, v44, v50
	v_sub_f16_e32 v15, v43, v15
	v_sub_f16_e32 v35, v45, v35
	ds_write2_b32 v33, v16, v19 offset1:13
	v_pack_b32_f16 v16, v41, v46
	v_pack_b32_f16 v14, v49, v14
	v_sub_f16_e32 v34, v48, v34
	v_sub_f16_e32 v40, v47, v40
	;; [unrolled: 1-line block ×6, first 2 shown]
	ds_write2_b32 v33, v16, v14 offset0:26 offset1:39
	v_pack_b32_f16 v14, v51, v53
	v_pack_b32_f16 v15, v15, v35
	ds_write2_b32 v33, v14, v15 offset0:52 offset1:65
	v_pack_b32_f16 v14, v34, v17
	v_pack_b32_f16 v15, v40, v18
	;; [unrolled: 1-line block ×4, first 2 shown]
	ds_write2_b32 v33, v14, v15 offset0:78 offset1:91
	ds_write2_b32 v33, v11, v12 offset0:104 offset1:117
	s_waitcnt lgkmcnt(0)
	; wave barrier
	s_waitcnt lgkmcnt(0)
	global_load_dword v34, v22, s[2:3] offset:468
	global_load_dword v35, v22, s[2:3] offset:572
	;; [unrolled: 1-line block ×5, first 2 shown]
	ds_read2_b32 v[14:15], v28 offset1:26
	ds_read2_b32 v[19:20], v28 offset0:104 offset1:130
	ds_read2_b32 v[11:12], v28 offset0:156 offset1:182
	;; [unrolled: 1-line block ×4, first 2 shown]
	s_waitcnt lgkmcnt(4)
	v_lshrrev_b32_e32 v13, 16, v14
	s_waitcnt lgkmcnt(3)
	v_lshrrev_b32_e32 v18, 16, v20
	;; [unrolled: 2-line block ×3, first 2 shown]
	v_lshrrev_b32_e32 v41, 16, v12
	s_waitcnt lgkmcnt(0)
	v_lshrrev_b32_e32 v42, 16, v16
	v_lshrrev_b32_e32 v43, 16, v17
	;; [unrolled: 1-line block ×6, first 2 shown]
	s_waitcnt vmcnt(4)
	v_mul_f16_sdwa v44, v18, v34 dst_sel:DWORD dst_unused:UNUSED_PAD src0_sel:DWORD src1_sel:WORD_1
	v_fma_f16 v44, v20, v34, -v44
	v_mul_f16_sdwa v20, v20, v34 dst_sel:DWORD dst_unused:UNUSED_PAD src0_sel:DWORD src1_sel:WORD_1
	v_fma_f16 v18, v18, v34, v20
	s_waitcnt vmcnt(3)
	v_mul_f16_sdwa v20, v39, v35 dst_sel:DWORD dst_unused:UNUSED_PAD src0_sel:DWORD src1_sel:WORD_1
	v_fma_f16 v20, v11, v35, -v20
	v_mul_f16_sdwa v11, v11, v35 dst_sel:DWORD dst_unused:UNUSED_PAD src0_sel:DWORD src1_sel:WORD_1
	v_fma_f16 v47, v39, v35, v11
	;; [unrolled: 5-line block ×4, first 2 shown]
	s_waitcnt vmcnt(0)
	v_mul_f16_sdwa v11, v43, v38 dst_sel:DWORD dst_unused:UNUSED_PAD src0_sel:DWORD src1_sel:WORD_1
	v_fma_f16 v54, v17, v38, -v11
	v_mul_f16_sdwa v11, v17, v38 dst_sel:DWORD dst_unused:UNUSED_PAD src0_sel:DWORD src1_sel:WORD_1
	v_sub_f16_e32 v12, v14, v44
	v_fma_f16 v55, v43, v38, v11
	v_sub_f16_e32 v41, v13, v18
	v_fma_f16 v11, v14, 2.0, -v12
	v_sub_f16_e32 v14, v15, v20
	v_sub_f16_e32 v43, v31, v47
	v_fma_f16 v39, v13, 2.0, -v41
	v_fma_f16 v13, v15, 2.0, -v14
	;; [unrolled: 1-line block ×3, first 2 shown]
	v_sub_f16_e32 v16, v45, v50
	v_sub_f16_e32 v44, v40, v51
	v_fma_f16 v15, v45, 2.0, -v16
	v_fma_f16 v45, v40, 2.0, -v44
	v_sub_f16_e32 v18, v46, v52
	v_sub_f16_e32 v47, v48, v53
	v_lshl_add_u32 v31, v21, 2, v24
	v_pack_b32_f16 v40, v11, v39
	v_pack_b32_f16 v51, v13, v42
	v_fma_f16 v17, v46, 2.0, -v18
	v_fma_f16 v46, v48, 2.0, -v47
	v_sub_f16_e32 v20, v19, v54
	v_sub_f16_e32 v48, v49, v55
	ds_write2_b32 v31, v40, v51 offset1:26
	v_pack_b32_f16 v40, v14, v43
	v_pack_b32_f16 v52, v16, v44
	v_fma_f16 v19, v19, 2.0, -v20
	v_fma_f16 v49, v49, 2.0, -v48
	v_pack_b32_f16 v51, v15, v45
	ds_write2_b32 v31, v40, v52 offset0:156 offset1:182
	v_pack_b32_f16 v40, v17, v46
	v_pack_b32_f16 v50, v12, v41
	ds_write2_b32 v31, v51, v40 offset0:52 offset1:78
	v_pack_b32_f16 v40, v18, v47
	v_pack_b32_f16 v51, v19, v49
	ds_write_b32 v31, v40 offset:832
	v_add_u32_e32 v40, v22, v24
	ds_write2_b32 v31, v51, v50 offset0:104 offset1:130
	v_pack_b32_f16 v50, v20, v48
	ds_write_b32 v40, v50 offset:936
	s_waitcnt lgkmcnt(0)
	; wave barrier
	s_waitcnt lgkmcnt(0)
	s_and_saveexec_b64 s[0:1], vcc
	s_cbranch_execz .LBB0_9
; %bb.8:
	global_load_dword v62, v22, s[6:7] offset:1040
	s_add_u32 s2, s6, 0x410
	s_addc_u32 s3, s7, 0
	global_load_dword v63, v22, s[2:3] offset:80
	global_load_dword v64, v22, s[2:3] offset:160
	;; [unrolled: 1-line block ×11, first 2 shown]
	ds_read2_b32 v[50:51], v31 offset1:20
	ds_read2_b32 v[52:53], v31 offset0:40 offset1:60
	ds_read2_b32 v[54:55], v31 offset0:80 offset1:100
	;; [unrolled: 1-line block ×5, first 2 shown]
	global_load_dword v74, v22, s[2:3] offset:960
	s_waitcnt lgkmcnt(5)
	v_lshrrev_b32_e32 v75, 16, v50
	v_lshrrev_b32_e32 v76, 16, v51
	s_waitcnt lgkmcnt(4)
	v_lshrrev_b32_e32 v77, 16, v52
	v_lshrrev_b32_e32 v78, 16, v53
	;; [unrolled: 3-line block ×5, first 2 shown]
	s_waitcnt vmcnt(9)
	v_mul_f16_sdwa v87, v78, v65 dst_sel:DWORD dst_unused:UNUSED_PAD src0_sel:DWORD src1_sel:WORD_1
	v_mul_f16_sdwa v88, v53, v65 dst_sel:DWORD dst_unused:UNUSED_PAD src0_sel:DWORD src1_sel:WORD_1
	s_waitcnt vmcnt(8)
	v_mul_f16_sdwa v89, v79, v66 dst_sel:DWORD dst_unused:UNUSED_PAD src0_sel:DWORD src1_sel:WORD_1
	v_mul_f16_sdwa v90, v54, v66 dst_sel:DWORD dst_unused:UNUSED_PAD src0_sel:DWORD src1_sel:WORD_1
	;; [unrolled: 3-line block ×3, first 2 shown]
	v_mul_f16_sdwa v86, v50, v62 dst_sel:DWORD dst_unused:UNUSED_PAD src0_sel:DWORD src1_sel:WORD_1
	v_fma_f16 v50, v50, v62, -v85
	v_fma_f16 v62, v75, v62, v86
	v_pack_b32_f16 v50, v50, v62
	v_mul_f16_sdwa v62, v76, v63 dst_sel:DWORD dst_unused:UNUSED_PAD src0_sel:DWORD src1_sel:WORD_1
	v_mul_f16_sdwa v75, v51, v63 dst_sel:DWORD dst_unused:UNUSED_PAD src0_sel:DWORD src1_sel:WORD_1
	;; [unrolled: 1-line block ×5, first 2 shown]
	s_waitcnt vmcnt(6)
	v_mul_f16_sdwa v93, v81, v68 dst_sel:DWORD dst_unused:UNUSED_PAD src0_sel:DWORD src1_sel:WORD_1
	v_mul_f16_sdwa v94, v56, v68 dst_sel:DWORD dst_unused:UNUSED_PAD src0_sel:DWORD src1_sel:WORD_1
	s_waitcnt vmcnt(5)
	v_mul_f16_sdwa v95, v82, v69 dst_sel:DWORD dst_unused:UNUSED_PAD src0_sel:DWORD src1_sel:WORD_1
	v_mul_f16_sdwa v96, v57, v69 dst_sel:DWORD dst_unused:UNUSED_PAD src0_sel:DWORD src1_sel:WORD_1
	;; [unrolled: 3-line block ×4, first 2 shown]
	v_fma_f16 v51, v51, v63, -v62
	v_fma_f16 v62, v76, v63, v75
	v_fma_f16 v52, v52, v64, -v85
	v_fma_f16 v63, v77, v64, v86
	;; [unrolled: 2-line block ×9, first 2 shown]
	v_pack_b32_f16 v51, v51, v62
	v_pack_b32_f16 v52, v52, v63
	;; [unrolled: 1-line block ×9, first 2 shown]
	ds_write2_b32 v31, v50, v51 offset1:20
	ds_write2_b32 v31, v52, v53 offset0:40 offset1:60
	ds_write2_b32 v31, v54, v55 offset0:80 offset1:100
	;; [unrolled: 1-line block ×4, first 2 shown]
	s_waitcnt lgkmcnt(5)
	v_lshrrev_b32_e32 v50, 16, v60
	s_waitcnt vmcnt(2)
	v_mul_f16_sdwa v51, v50, v72 dst_sel:DWORD dst_unused:UNUSED_PAD src0_sel:DWORD src1_sel:WORD_1
	v_mul_f16_sdwa v52, v60, v72 dst_sel:DWORD dst_unused:UNUSED_PAD src0_sel:DWORD src1_sel:WORD_1
	v_fma_f16 v51, v60, v72, -v51
	v_fma_f16 v50, v50, v72, v52
	ds_read_b32 v53, v31 offset:960
	v_pack_b32_f16 v50, v51, v50
	v_lshrrev_b32_e32 v51, 16, v61
	s_waitcnt vmcnt(1)
	v_mul_f16_sdwa v52, v51, v73 dst_sel:DWORD dst_unused:UNUSED_PAD src0_sel:DWORD src1_sel:WORD_1
	v_mul_f16_sdwa v54, v61, v73 dst_sel:DWORD dst_unused:UNUSED_PAD src0_sel:DWORD src1_sel:WORD_1
	v_fma_f16 v52, v61, v73, -v52
	v_fma_f16 v51, v51, v73, v54
	v_pack_b32_f16 v51, v52, v51
	ds_write2_b32 v31, v50, v51 offset0:200 offset1:220
	s_waitcnt lgkmcnt(1)
	v_lshrrev_b32_e32 v50, 16, v53
	s_waitcnt vmcnt(0)
	v_mul_f16_sdwa v51, v50, v74 dst_sel:DWORD dst_unused:UNUSED_PAD src0_sel:DWORD src1_sel:WORD_1
	v_mul_f16_sdwa v52, v53, v74 dst_sel:DWORD dst_unused:UNUSED_PAD src0_sel:DWORD src1_sel:WORD_1
	v_fma_f16 v51, v53, v74, -v51
	v_fma_f16 v50, v50, v74, v52
	v_pack_b32_f16 v50, v51, v50
	ds_write_b32 v31, v50 offset:960
.LBB0_9:
	s_or_b64 exec, exec, s[0:1]
	s_waitcnt lgkmcnt(0)
	; wave barrier
	s_waitcnt lgkmcnt(0)
	s_and_saveexec_b64 s[0:1], vcc
	s_cbranch_execz .LBB0_11
; %bb.10:
	ds_read2_b32 v[11:12], v31 offset1:20
	ds_read2_b32 v[13:14], v31 offset0:40 offset1:60
	ds_read2_b32 v[15:16], v31 offset0:80 offset1:100
	;; [unrolled: 1-line block ×5, first 2 shown]
	ds_read_b32 v26, v31 offset:960
	s_waitcnt lgkmcnt(6)
	v_lshrrev_b32_e32 v39, 16, v11
	v_lshrrev_b32_e32 v41, 16, v12
	s_waitcnt lgkmcnt(5)
	v_lshrrev_b32_e32 v42, 16, v13
	v_lshrrev_b32_e32 v43, 16, v14
	;; [unrolled: 3-line block ×6, first 2 shown]
	s_waitcnt lgkmcnt(0)
	v_lshrrev_b32_e32 v30, 16, v26
.LBB0_11:
	s_or_b64 exec, exec, s[0:1]
	v_add_u32_e32 v40, 0x1a0, v40
	s_waitcnt lgkmcnt(0)
	; wave barrier
	s_and_saveexec_b64 s[0:1], vcc
	s_cbranch_execz .LBB0_13
; %bb.12:
	v_sub_f16_e32 v50, v12, v26
	v_mul_f16_e32 v51, 0xbb7b, v50
	v_add_f16_e32 v52, v30, v41
	s_mov_b32 s2, 0xb5ac
	v_sub_f16_e32 v54, v13, v10
	v_fma_f16 v53, v52, s2, v51
	v_mul_f16_e32 v55, 0x394e, v54
	v_add_f16_e32 v56, v27, v42
	s_mov_b32 s3, 0xb9fd
	v_add_f16_e32 v53, v39, v53
	v_fma_f16 v57, v56, s3, v55
	v_add_f16_e32 v53, v57, v53
	v_sub_f16_e32 v57, v14, v9
	v_mul_f16_e32 v58, 0x3770, v57
	v_add_f16_e32 v59, v29, v43
	s_movk_i32 s5, 0x3b15
	v_fma_f16 v60, v59, s5, v58
	v_add_f16_e32 v53, v60, v53
	v_sub_f16_e32 v60, v15, v20
	v_mul_f16_e32 v61, 0xbbf1, v60
	v_add_f16_e32 v62, v48, v45
	s_movk_i32 s14, 0x2fb7
	v_fma_f16 v63, v62, s14, v61
	v_add_f16_e32 v53, v63, v53
	v_sub_f16_e32 v63, v16, v19
	v_mul_f16_e32 v64, 0x33a8, v63
	v_add_f16_e32 v65, v49, v44
	s_mov_b32 s15, 0xbbc4
	v_fma_f16 v66, v65, s15, v64
	v_add_f16_e32 v53, v66, v53
	v_sub_f16_e32 v66, v17, v18
	v_mul_f16_e32 v67, 0x3a95, v66
	v_add_f16_e32 v68, v47, v46
	s_movk_i32 s17, 0x388b
	v_fma_f16 v69, v68, s17, v67
	v_sub_f16_e32 v70, v41, v30
	v_add_f16_e32 v53, v69, v53
	v_add_f16_e32 v69, v26, v12
	v_mul_f16_e32 v71, 0xbb7b, v70
	v_sub_f16_e32 v74, v42, v27
	v_fma_f16 v72, v69, s2, -v71
	v_add_f16_e32 v73, v10, v13
	v_mul_f16_e32 v75, 0x394e, v74
	v_add_f16_e32 v72, v11, v72
	v_fma_f16 v76, v73, s3, -v75
	v_sub_f16_e32 v77, v43, v29
	v_add_f16_e32 v72, v76, v72
	v_add_f16_e32 v76, v9, v14
	v_mul_f16_e32 v78, 0x3770, v77
	v_fma_f16 v79, v76, s5, -v78
	v_sub_f16_e32 v80, v45, v48
	v_add_f16_e32 v72, v79, v72
	v_add_f16_e32 v79, v20, v15
	v_mul_f16_e32 v81, 0xbbf1, v80
	v_fma_f16 v82, v79, s14, -v81
	v_sub_f16_e32 v83, v44, v49
	v_add_f16_e32 v72, v82, v72
	v_add_f16_e32 v82, v19, v16
	v_mul_f16_e32 v84, 0x33a8, v83
	v_fma_f16 v85, v82, s15, -v84
	v_sub_f16_e32 v86, v46, v47
	v_add_f16_e32 v72, v85, v72
	v_add_f16_e32 v85, v18, v17
	v_mul_f16_e32 v87, 0x3a95, v86
	v_fma_f16 v88, v85, s17, -v87
	v_add_f16_e32 v72, v88, v72
	v_mul_f16_e32 v88, 0xb94e, v50
	v_fma_f16 v89, v52, s3, v88
	v_mul_f16_e32 v90, 0x3bf1, v54
	v_add_f16_e32 v89, v39, v89
	v_fma_f16 v91, v56, s14, v90
	v_fma_f16 v51, v52, s2, -v51
	v_add_f16_e32 v89, v91, v89
	v_mul_f16_e32 v91, 0xba95, v57
	v_add_f16_e32 v51, v39, v51
	v_fma_f16 v55, v56, s3, -v55
	v_fma_f16 v92, v59, s17, v91
	v_add_f16_e32 v51, v55, v51
	v_fma_f16 v55, v59, s5, -v58
	v_add_f16_e32 v89, v92, v89
	v_mul_f16_e32 v92, 0x33a8, v60
	v_add_f16_e32 v51, v55, v51
	v_fma_f16 v55, v62, s14, -v61
	v_fma_f16 v93, v62, s15, v92
	v_add_f16_e32 v51, v55, v51
	;; [unrolled: 7-line block ×3, first 2 shown]
	v_fma_f16 v55, v69, s2, v71
	v_add_f16_e32 v89, v94, v89
	v_mul_f16_e32 v94, 0xbb7b, v66
	v_add_f16_e32 v55, v11, v55
	v_fma_f16 v58, v73, s3, v75
	v_fma_f16 v95, v68, s2, v94
	v_add_f16_e32 v55, v58, v55
	v_fma_f16 v58, v76, s5, v78
	v_add_f16_e32 v89, v95, v89
	v_mul_f16_e32 v95, 0xb94e, v70
	v_add_f16_e32 v55, v58, v55
	v_fma_f16 v58, v79, s14, v81
	v_fma_f16 v96, v69, s3, -v95
	v_mul_f16_e32 v97, 0x3bf1, v74
	v_add_f16_e32 v55, v58, v55
	v_fma_f16 v58, v82, s15, v84
	v_add_f16_e32 v96, v11, v96
	v_fma_f16 v98, v73, s14, -v97
	v_add_f16_e32 v55, v58, v55
	v_fma_f16 v58, v85, s17, v87
	s_movk_i32 s22, 0x3bf1
	v_add_f16_e32 v96, v98, v96
	v_mul_f16_e32 v98, 0xba95, v77
	v_add_f16_e32 v55, v58, v55
	v_mul_f16_e32 v58, 0x2fb7, v52
	s_movk_i32 s24, 0x33a8
	v_fma_f16 v99, v76, s17, -v98
	v_fma_f16 v88, v52, s3, -v88
	v_fma_f16 v61, v50, s22, v58
	v_mul_f16_e32 v64, 0xbbc4, v56
	v_add_f16_e32 v96, v99, v96
	v_mul_f16_e32 v99, 0x33a8, v80
	v_add_f16_e32 v88, v39, v88
	v_fma_f16 v90, v56, s14, -v90
	v_add_f16_e32 v61, v39, v61
	v_fma_f16 v67, v54, s24, v64
	s_mov_b32 s4, 0xbb7b
	v_fma_f16 v100, v79, s15, -v99
	v_add_f16_e32 v88, v90, v88
	v_fma_f16 v90, v59, s17, -v91
	v_add_f16_e32 v61, v67, v61
	v_mul_f16_e32 v67, 0xb5ac, v59
	v_add_f16_e32 v96, v100, v96
	v_mul_f16_e32 v100, 0x3770, v83
	v_add_f16_e32 v88, v90, v88
	v_fma_f16 v90, v62, s15, -v92
	v_fma_f16 v71, v57, s4, v67
	v_fma_f16 v101, v82, s5, -v100
	v_add_f16_e32 v88, v90, v88
	v_fma_f16 v90, v65, s5, -v93
	v_add_f16_e32 v61, v71, v61
	v_mul_f16_e32 v71, 0x3b15, v62
	s_mov_b32 s26, 0xb770
	v_add_f16_e32 v96, v101, v96
	v_mul_f16_e32 v101, 0xbb7b, v86
	v_add_f16_e32 v88, v90, v88
	v_fma_f16 v90, v68, s2, -v94
	v_fma_f16 v75, v60, s26, v71
	s_movk_i32 s25, 0x3a95
	v_fma_f16 v102, v85, s2, -v101
	v_add_f16_e32 v88, v90, v88
	v_fma_f16 v90, v69, s3, v95
	v_add_f16_e32 v61, v75, v61
	v_mul_f16_e32 v75, 0x388b, v65
	v_add_f16_e32 v96, v102, v96
	v_mul_f16_e32 v102, 0xb3a8, v50
	v_add_f16_e32 v90, v11, v90
	v_fma_f16 v91, v73, s14, v97
	v_fma_f16 v78, v63, s25, v75
	s_movk_i32 s18, 0x394e
	v_fma_f16 v103, v52, s15, v102
	v_mul_f16_e32 v104, 0x3770, v54
	v_add_f16_e32 v90, v91, v90
	v_fma_f16 v91, v76, s17, v98
	v_add_f16_e32 v61, v78, v61
	v_mul_f16_e32 v78, 0xb9fd, v68
	v_add_f16_e32 v103, v39, v103
	v_fma_f16 v105, v56, s5, v104
	v_add_f16_e32 v90, v91, v90
	v_fma_f16 v91, v79, s15, v99
	v_fma_f16 v81, v66, s18, v78
	v_add_f16_e32 v103, v105, v103
	v_mul_f16_e32 v105, 0xb94e, v57
	v_add_f16_e32 v90, v91, v90
	v_fma_f16 v91, v82, s5, v100
	v_add_f16_e32 v61, v81, v61
	v_mul_f16_e32 v81, 0xbbf1, v70
	v_fma_f16 v106, v59, s3, v105
	v_add_f16_e32 v90, v91, v90
	v_fma_f16 v91, v85, s2, v101
	v_fma_f16 v84, v69, s14, v81
	v_mul_f16_e32 v87, 0xb3a8, v74
	v_add_f16_e32 v12, v12, v11
	v_add_f16_e32 v103, v106, v103
	v_mul_f16_e32 v106, 0x3a95, v60
	v_add_f16_e32 v90, v91, v90
	v_add_f16_e32 v84, v11, v84
	v_fma_f16 v91, v73, s15, v87
	v_add_f16_e32 v12, v13, v12
	v_fma_f16 v107, v62, s17, v106
	v_add_f16_e32 v84, v91, v84
	v_mul_f16_e32 v91, 0x3b7b, v77
	v_add_f16_e32 v12, v14, v12
	v_add_f16_e32 v103, v107, v103
	v_mul_f16_e32 v107, 0xbb7b, v63
	v_fma_f16 v92, v76, s2, v91
	v_add_f16_e32 v12, v15, v12
	v_fma_f16 v108, v65, s2, v107
	v_add_f16_e32 v84, v92, v84
	v_mul_f16_e32 v92, 0x3770, v80
	v_add_f16_e32 v12, v16, v12
	v_add_f16_e32 v103, v108, v103
	v_mul_f16_e32 v108, 0x3bf1, v66
	v_fma_f16 v93, v79, s5, v92
	v_add_f16_e32 v12, v17, v12
	v_fma_f16 v109, v68, s14, v108
	v_fma_f16 v102, v52, s15, -v102
	v_add_f16_e32 v84, v93, v84
	v_mul_f16_e32 v93, 0xba95, v83
	v_add_f16_e32 v12, v18, v12
	v_add_f16_e32 v103, v109, v103
	v_mul_f16_e32 v109, 0xb3a8, v70
	v_add_f16_e32 v102, v39, v102
	v_fma_f16 v104, v56, s5, -v104
	v_fma_f16 v94, v82, s17, v93
	v_add_f16_e32 v12, v19, v12
	s_mov_b32 s16, 0xbbf1
	v_fma_f16 v110, v69, s15, -v109
	v_mul_f16_e32 v111, 0x3770, v74
	v_add_f16_e32 v102, v104, v102
	v_fma_f16 v104, v59, s3, -v105
	v_add_f16_e32 v84, v94, v84
	v_mul_f16_e32 v94, 0xb94e, v86
	v_add_f16_e32 v12, v20, v12
	s_mov_b32 s23, 0xb3a8
	v_add_f16_e32 v110, v11, v110
	v_fma_f16 v112, v73, s5, -v111
	v_add_f16_e32 v102, v104, v102
	v_fma_f16 v104, v62, s17, -v106
	v_fma_f16 v95, v85, s3, v94
	v_add_f16_e32 v9, v9, v12
	v_fma_f16 v12, v50, s16, v58
	v_add_f16_e32 v110, v112, v110
	v_mul_f16_e32 v112, 0xb94e, v77
	v_add_f16_e32 v102, v104, v102
	v_fma_f16 v104, v65, s2, -v107
	s_movk_i32 s27, 0x3b7b
	v_add_f16_e32 v84, v95, v84
	v_mul_f16_e32 v95, 0x388b, v52
	v_add_f16_e32 v12, v39, v12
	v_fma_f16 v13, v54, s23, v64
	s_movk_i32 s19, 0x3770
	v_fma_f16 v113, v76, s3, -v112
	v_add_f16_e32 v102, v104, v102
	v_fma_f16 v104, v68, s14, -v108
	v_fma_f16 v97, v50, s25, v95
	v_mul_f16_e32 v98, 0xb5ac, v56
	v_add_f16_e32 v12, v13, v12
	v_fma_f16 v13, v57, s27, v67
	s_mov_b32 s21, 0xba95
	v_add_f16_e32 v110, v113, v110
	v_mul_f16_e32 v113, 0x3a95, v80
	v_add_f16_e32 v102, v104, v102
	v_fma_f16 v104, v69, s15, v109
	v_add_f16_e32 v97, v39, v97
	v_fma_f16 v99, v54, s27, v98
	;; [unrolled: 2-line block ×3, first 2 shown]
	s_mov_b32 s20, 0xb94e
	v_fma_f16 v114, v79, s17, -v113
	v_add_f16_e32 v104, v11, v104
	v_fma_f16 v105, v73, s5, v111
	v_add_f16_e32 v97, v99, v97
	v_mul_f16_e32 v99, 0xbbc4, v59
	v_add_f16_e32 v12, v13, v12
	v_fma_f16 v13, v63, s21, v75
	v_add_f16_e32 v110, v114, v110
	v_mul_f16_e32 v114, 0xbb7b, v83
	v_add_f16_e32 v104, v105, v104
	v_fma_f16 v105, v76, s3, v112
	v_fma_f16 v100, v57, s24, v99
	v_add_f16_e32 v12, v13, v12
	v_fma_f16 v13, v66, s20, v78
	v_fma_f16 v115, v82, s2, -v114
	v_add_f16_e32 v104, v105, v104
	v_fma_f16 v105, v79, s17, v113
	v_add_f16_e32 v97, v100, v97
	v_mul_f16_e32 v100, 0xb9fd, v62
	v_add_f16_e32 v12, v13, v12
	v_fma_f16 v13, v69, s14, -v81
	v_add_f16_e32 v110, v115, v110
	v_mul_f16_e32 v115, 0x3bf1, v86
	v_add_f16_e32 v104, v105, v104
	v_fma_f16 v105, v82, s2, v114
	v_fma_f16 v101, v60, s20, v100
	v_add_f16_e32 v13, v11, v13
	v_fma_f16 v14, v73, s15, -v87
	v_add_f16_e32 v104, v105, v104
	v_fma_f16 v105, v85, s14, v115
	v_add_f16_e32 v97, v101, v97
	v_mul_f16_e32 v101, 0x2fb7, v65
	v_add_f16_e32 v13, v14, v13
	v_fma_f16 v14, v76, s2, -v91
	v_add_f16_e32 v104, v105, v104
	v_fma_f16 v105, v63, s16, v101
	v_add_f16_e32 v13, v14, v13
	v_fma_f16 v14, v79, s5, -v92
	v_add_f16_e32 v97, v105, v97
	v_mul_f16_e32 v105, 0x3b15, v68
	v_add_f16_e32 v13, v14, v13
	v_fma_f16 v14, v82, s17, -v93
	v_fma_f16 v106, v66, s26, v105
	v_add_f16_e32 v13, v14, v13
	v_fma_f16 v14, v85, s3, -v94
	v_add_f16_e32 v97, v106, v97
	v_mul_f16_e32 v106, 0xba95, v70
	v_add_f16_e32 v13, v14, v13
	v_fma_f16 v14, v50, s21, v95
	v_fma_f16 v107, v69, s17, v106
	v_mul_f16_e32 v108, 0xbb7b, v74
	v_add_f16_e32 v14, v39, v14
	v_fma_f16 v15, v54, s4, v98
	v_add_f16_e32 v107, v11, v107
	v_fma_f16 v109, v73, s2, v108
	;; [unrolled: 2-line block ×3, first 2 shown]
	v_add_f16_e32 v107, v109, v107
	v_mul_f16_e32 v109, 0xb3a8, v77
	v_add_f16_e32 v14, v15, v14
	v_fma_f16 v15, v60, s18, v100
	v_fma_f16 v111, v76, s15, v109
	v_add_f16_e32 v14, v15, v14
	v_fma_f16 v15, v63, s22, v101
	v_add_f16_e32 v107, v111, v107
	v_mul_f16_e32 v111, 0x394e, v80
	v_add_f16_e32 v14, v15, v14
	v_fma_f16 v15, v66, s19, v105
	v_fma_f16 v112, v79, s3, v111
	v_add_f16_e32 v14, v15, v14
	v_fma_f16 v15, v69, s17, -v106
	v_add_f16_e32 v107, v112, v107
	v_mul_f16_e32 v112, 0x3bf1, v83
	v_add_f16_e32 v15, v11, v15
	v_fma_f16 v16, v73, s2, -v108
	v_fma_f16 v113, v82, s14, v112
	v_add_f16_e32 v15, v16, v15
	v_fma_f16 v16, v76, s15, -v109
	v_add_f16_e32 v107, v113, v107
	v_mul_f16_e32 v113, 0x3770, v86
	v_add_f16_e32 v15, v16, v15
	v_fma_f16 v16, v79, s3, -v111
	v_fma_f16 v114, v85, s5, v113
	v_mul_f16_e32 v52, 0x3b15, v52
	v_add_f16_e32 v15, v16, v15
	v_fma_f16 v16, v82, s14, -v112
	v_add_f16_e32 v107, v114, v107
	v_fma_f16 v114, v50, s19, v52
	v_mul_f16_e32 v56, 0x388b, v56
	v_add_f16_e32 v15, v16, v15
	v_fma_f16 v16, v85, s5, -v113
	v_fma_f16 v116, v85, s14, -v115
	v_add_f16_e32 v114, v39, v114
	v_fma_f16 v115, v54, s25, v56
	v_mul_f16_e32 v59, 0x2fb7, v59
	v_add_f16_e32 v9, v10, v9
	v_add_f16_e32 v10, v41, v39
	;; [unrolled: 1-line block ×3, first 2 shown]
	v_fma_f16 v16, v50, s26, v52
	v_add_f16_e32 v114, v115, v114
	v_fma_f16 v115, v57, s22, v59
	v_mul_f16_e32 v62, 0xb5ac, v62
	v_add_f16_e32 v10, v42, v10
	v_add_f16_e32 v16, v39, v16
	v_fma_f16 v17, v54, s21, v56
	v_add_f16_e32 v114, v115, v114
	v_fma_f16 v115, v60, s27, v62
	v_mul_f16_e32 v65, 0xb9fd, v65
	v_add_f16_e32 v10, v43, v10
	v_add_f16_e32 v16, v17, v16
	;; [unrolled: 6-line block ×5, first 2 shown]
	v_fma_f16 v17, v66, s23, v68
	v_add_f16_e32 v110, v116, v110
	v_add_f16_e32 v115, v11, v115
	v_fma_f16 v116, v73, s17, v74
	v_mul_f16_e32 v77, 0xbbf1, v77
	v_add_f16_e32 v10, v47, v10
	v_add_f16_e32 v16, v17, v16
	v_fma_f16 v17, v69, s5, -v70
	v_add_f16_e32 v115, v116, v115
	v_fma_f16 v116, v76, s14, v77
	v_mul_f16_e32 v80, 0xbb7b, v80
	v_add_f16_e32 v10, v49, v10
	v_add_f16_e32 v11, v11, v17
	v_fma_f16 v17, v73, s17, -v74
	;; [unrolled: 6-line block ×4, first 2 shown]
	v_add_f16_e32 v115, v116, v115
	v_fma_f16 v116, v85, s15, v86
	v_add_f16_e32 v10, v27, v10
	v_add_f16_e32 v11, v17, v11
	v_fma_f16 v17, v82, s3, -v83
	v_add_f16_e32 v115, v116, v115
	v_add_f16_e32 v9, v26, v9
	;; [unrolled: 1-line block ×4, first 2 shown]
	v_fma_f16 v17, v85, s15, -v86
	v_add_f16_e32 v11, v17, v11
	v_lshl_add_u32 v17, v25, 2, v24
	v_pack_b32_f16 v18, v115, v114
	v_pack_b32_f16 v9, v9, v10
	ds_write2_b32 v17, v9, v18 offset1:1
	v_pack_b32_f16 v9, v84, v61
	v_pack_b32_f16 v10, v107, v97
	ds_write2_b32 v17, v10, v9 offset0:2 offset1:3
	v_pack_b32_f16 v9, v90, v88
	v_pack_b32_f16 v10, v55, v51
	ds_write2_b32 v17, v10, v9 offset0:4 offset1:5
	;; [unrolled: 3-line block ×5, first 2 shown]
	v_pack_b32_f16 v9, v11, v16
	ds_write_b32 v17, v9 offset:48
.LBB0_13:
	s_or_b64 exec, exec, s[0:1]
	s_waitcnt lgkmcnt(0)
	; wave barrier
	s_waitcnt lgkmcnt(0)
	ds_read2_b32 v[9:10], v28 offset1:26
	ds_read2_b32 v[11:12], v28 offset0:52 offset1:78
	ds_read2_b32 v[13:14], v28 offset0:104 offset1:130
	;; [unrolled: 1-line block ×4, first 2 shown]
	s_waitcnt lgkmcnt(4)
	v_lshrrev_b32_e32 v20, 16, v10
	v_mul_f16_sdwa v42, v0, v20 dst_sel:DWORD dst_unused:UNUSED_PAD src0_sel:WORD_1 src1_sel:DWORD
	s_waitcnt lgkmcnt(3)
	v_lshrrev_b32_e32 v24, 16, v11
	v_fma_f16 v42, v0, v10, v42
	v_mul_f16_sdwa v10, v0, v10 dst_sel:DWORD dst_unused:UNUSED_PAD src0_sel:WORD_1 src1_sel:DWORD
	v_fma_f16 v0, v0, v20, -v10
	v_mul_f16_sdwa v10, v1, v24 dst_sel:DWORD dst_unused:UNUSED_PAD src0_sel:WORD_1 src1_sel:DWORD
	v_lshrrev_b32_e32 v25, 16, v12
	v_fma_f16 v10, v1, v11, v10
	v_mul_f16_sdwa v11, v1, v11 dst_sel:DWORD dst_unused:UNUSED_PAD src0_sel:WORD_1 src1_sel:DWORD
	v_fma_f16 v1, v1, v24, -v11
	v_mul_f16_sdwa v11, v2, v25 dst_sel:DWORD dst_unused:UNUSED_PAD src0_sel:WORD_1 src1_sel:DWORD
	s_waitcnt lgkmcnt(2)
	v_lshrrev_b32_e32 v26, 16, v13
	v_fma_f16 v11, v2, v12, v11
	v_mul_f16_sdwa v12, v2, v12 dst_sel:DWORD dst_unused:UNUSED_PAD src0_sel:WORD_1 src1_sel:DWORD
	v_fma_f16 v2, v2, v25, -v12
	v_mul_f16_sdwa v12, v3, v26 dst_sel:DWORD dst_unused:UNUSED_PAD src0_sel:WORD_1 src1_sel:DWORD
	v_lshrrev_b32_e32 v27, 16, v14
	v_fma_f16 v12, v3, v13, v12
	v_mul_f16_sdwa v13, v3, v13 dst_sel:DWORD dst_unused:UNUSED_PAD src0_sel:WORD_1 src1_sel:DWORD
	v_fma_f16 v3, v3, v26, -v13
	;; [unrolled: 11-line block ×3, first 2 shown]
	v_mul_f16_sdwa v15, v6, v30 dst_sel:DWORD dst_unused:UNUSED_PAD src0_sel:WORD_1 src1_sel:DWORD
	s_waitcnt lgkmcnt(0)
	v_lshrrev_b32_e32 v39, 16, v17
	v_fma_f16 v15, v6, v16, v15
	v_mul_f16_sdwa v16, v6, v16 dst_sel:DWORD dst_unused:UNUSED_PAD src0_sel:WORD_1 src1_sel:DWORD
	v_fma_f16 v6, v6, v30, -v16
	v_mul_f16_sdwa v16, v7, v39 dst_sel:DWORD dst_unused:UNUSED_PAD src0_sel:WORD_1 src1_sel:DWORD
	v_fma_f16 v16, v7, v17, v16
	v_mul_f16_sdwa v17, v7, v17 dst_sel:DWORD dst_unused:UNUSED_PAD src0_sel:WORD_1 src1_sel:DWORD
	v_fma_f16 v7, v7, v39, -v17
	v_add_f16_e32 v24, v12, v14
	v_fma_f16 v24, v24, -0.5, v9
	v_sub_f16_e32 v25, v1, v7
	s_mov_b32 s0, 0xbb9c
	s_movk_i32 s3, 0x3b9c
	v_fma_f16 v26, v25, s0, v24
	v_sub_f16_e32 v27, v3, v5
	s_mov_b32 s1, 0xb8b4
	v_sub_f16_e32 v29, v10, v12
	v_sub_f16_e32 v30, v16, v14
	v_fma_f16 v24, v25, s3, v24
	s_movk_i32 s4, 0x38b4
	v_fma_f16 v26, v27, s1, v26
	v_add_f16_e32 v29, v29, v30
	s_movk_i32 s2, 0x34f2
	v_fma_f16 v24, v27, s4, v24
	v_lshrrev_b32_e32 v41, 16, v18
	v_fma_f16 v26, v29, s2, v26
	v_fma_f16 v24, v29, s2, v24
	v_add_f16_e32 v29, v10, v16
	v_lshrrev_b32_e32 v19, 16, v9
	v_mul_f16_sdwa v17, v32, v41 dst_sel:DWORD dst_unused:UNUSED_PAD src0_sel:WORD_1 src1_sel:DWORD
	v_add_f16_e32 v20, v9, v10
	v_fma_f16 v9, v29, -0.5, v9
	v_fma_f16 v17, v32, v18, v17
	v_mul_f16_sdwa v18, v32, v18 dst_sel:DWORD dst_unused:UNUSED_PAD src0_sel:WORD_1 src1_sel:DWORD
	v_add_f16_e32 v20, v20, v12
	v_fma_f16 v29, v27, s3, v9
	v_fma_f16 v9, v27, s0, v9
	v_add_f16_e32 v27, v3, v5
	v_fma_f16 v18, v32, v41, -v18
	v_add_f16_e32 v20, v20, v14
	v_sub_f16_e32 v30, v12, v10
	v_sub_f16_e32 v32, v14, v16
	v_fma_f16 v27, v27, -0.5, v19
	v_sub_f16_e32 v10, v10, v16
	v_add_f16_e32 v20, v20, v16
	v_fma_f16 v29, v25, s1, v29
	v_add_f16_e32 v30, v30, v32
	v_fma_f16 v9, v25, s4, v9
	v_fma_f16 v16, v10, s3, v27
	v_sub_f16_e32 v12, v12, v14
	v_fma_f16 v29, v30, s2, v29
	v_fma_f16 v9, v30, s2, v9
	;; [unrolled: 1-line block ×3, first 2 shown]
	v_sub_f16_e32 v16, v1, v3
	v_sub_f16_e32 v30, v7, v5
	v_fma_f16 v27, v10, s0, v27
	v_add_f16_e32 v25, v19, v1
	v_add_f16_e32 v16, v16, v30
	v_fma_f16 v27, v12, s1, v27
	v_add_f16_e32 v25, v25, v3
	v_fma_f16 v14, v16, s2, v14
	v_fma_f16 v16, v16, s2, v27
	v_add_f16_e32 v27, v1, v7
	v_add_f16_e32 v25, v25, v5
	v_fma_f16 v19, v27, -0.5, v19
	v_add_f16_e32 v25, v25, v7
	v_fma_f16 v27, v12, s0, v19
	v_sub_f16_e32 v1, v3, v1
	v_sub_f16_e32 v3, v5, v7
	v_fma_f16 v5, v12, s3, v19
	v_add_f16_e32 v7, v13, v15
	v_fma_f16 v27, v10, s4, v27
	v_add_f16_e32 v1, v1, v3
	v_fma_f16 v5, v10, s1, v5
	v_fma_f16 v7, v7, -0.5, v42
	v_sub_f16_e32 v10, v2, v18
	v_fma_f16 v3, v1, s2, v27
	v_fma_f16 v12, v10, s0, v7
	v_sub_f16_e32 v19, v4, v6
	v_sub_f16_e32 v27, v11, v13
	;; [unrolled: 1-line block ×3, first 2 shown]
	v_fma_f16 v7, v10, s3, v7
	v_fma_f16 v12, v19, s1, v12
	v_add_f16_e32 v27, v27, v30
	v_fma_f16 v7, v19, s4, v7
	v_fma_f16 v12, v27, s2, v12
	;; [unrolled: 1-line block ×3, first 2 shown]
	v_add_f16_e32 v27, v11, v17
	v_fma_f16 v1, v1, s2, v5
	v_add_f16_e32 v5, v42, v11
	v_fma_f16 v27, v27, -0.5, v42
	v_add_f16_e32 v5, v5, v13
	v_fma_f16 v30, v19, s3, v27
	v_fma_f16 v19, v19, s0, v27
	v_add_f16_e32 v27, v4, v6
	v_add_f16_e32 v5, v5, v15
	v_sub_f16_e32 v32, v13, v11
	v_sub_f16_e32 v39, v15, v17
	v_fma_f16 v27, v27, -0.5, v0
	v_sub_f16_e32 v11, v11, v17
	v_add_f16_e32 v5, v5, v17
	v_fma_f16 v30, v10, s1, v30
	v_add_f16_e32 v32, v32, v39
	v_fma_f16 v10, v10, s4, v19
	v_fma_f16 v17, v11, s3, v27
	v_sub_f16_e32 v13, v13, v15
	v_fma_f16 v30, v32, s2, v30
	v_fma_f16 v10, v32, s2, v10
	;; [unrolled: 1-line block ×3, first 2 shown]
	v_sub_f16_e32 v17, v2, v4
	v_sub_f16_e32 v32, v18, v6
	v_fma_f16 v27, v11, s0, v27
	v_add_f16_e32 v17, v17, v32
	v_fma_f16 v27, v13, s1, v27
	v_fma_f16 v15, v17, s2, v15
	;; [unrolled: 1-line block ×3, first 2 shown]
	v_add_f16_e32 v27, v2, v18
	v_add_f16_e32 v19, v0, v2
	v_fma_f16 v0, v27, -0.5, v0
	v_add_f16_e32 v19, v19, v4
	v_fma_f16 v27, v13, s0, v0
	v_sub_f16_e32 v2, v4, v2
	v_sub_f16_e32 v4, v6, v18
	v_fma_f16 v0, v13, s3, v0
	v_fma_f16 v27, v11, s4, v27
	v_add_f16_e32 v2, v2, v4
	v_fma_f16 v0, v11, s1, v0
	v_add_f16_e32 v19, v19, v6
	v_fma_f16 v4, v2, s2, v27
	v_fma_f16 v0, v2, s2, v0
	v_mul_f16_e32 v6, 0xb8b4, v15
	s_movk_i32 s0, 0x3a79
	v_mul_f16_e32 v15, 0x3a79, v15
	v_add_f16_e32 v19, v19, v18
	v_fma_f16 v6, v12, s0, v6
	v_mul_f16_e32 v13, 0xbb9c, v4
	v_mul_f16_e32 v27, 0xbb9c, v0
	s_mov_b32 s0, 0xb4f2
	v_fma_f16 v12, v12, s4, v15
	v_mul_f16_e32 v4, 0x34f2, v4
	v_mul_f16_e32 v0, 0xb4f2, v0
	v_add_f16_e32 v2, v20, v5
	v_add_f16_e32 v11, v26, v6
	v_fma_f16 v13, v30, s2, v13
	v_fma_f16 v27, v10, s0, v27
	v_mul_f16_e32 v39, 0xb8b4, v17
	s_mov_b32 s0, 0xba79
	v_add_f16_e32 v42, v25, v19
	v_add_f16_e32 v15, v14, v12
	v_fma_f16 v4, v30, s3, v4
	v_fma_f16 v0, v10, s3, v0
	v_mul_f16_e32 v17, 0xba79, v17
	v_add_f16_e32 v18, v29, v13
	v_add_f16_e32 v32, v9, v27
	v_fma_f16 v39, v7, s0, v39
	v_add_f16_e32 v30, v3, v4
	v_add_f16_e32 v10, v1, v0
	v_fma_f16 v7, v7, s4, v17
	v_sub_f16_e32 v3, v3, v4
	v_pack_b32_f16 v2, v2, v42
	v_pack_b32_f16 v4, v11, v15
	v_add_f16_e32 v41, v24, v39
	v_add_f16_e32 v17, v16, v7
	v_sub_f16_e32 v5, v20, v5
	v_sub_f16_e32 v19, v25, v19
	s_waitcnt lgkmcnt(0)
	; wave barrier
	ds_write2_b32 v33, v2, v4 offset1:13
	v_pack_b32_f16 v2, v18, v30
	v_pack_b32_f16 v4, v32, v10
	v_sub_f16_e32 v6, v26, v6
	v_sub_f16_e32 v13, v29, v13
	;; [unrolled: 1-line block ×7, first 2 shown]
	ds_write2_b32 v33, v2, v4 offset0:26 offset1:39
	v_pack_b32_f16 v2, v41, v17
	v_pack_b32_f16 v4, v5, v19
	ds_write2_b32 v33, v2, v4 offset0:52 offset1:65
	v_pack_b32_f16 v2, v6, v12
	v_pack_b32_f16 v3, v13, v3
	;; [unrolled: 1-line block ×4, first 2 shown]
	ds_write2_b32 v33, v2, v3 offset0:78 offset1:91
	ds_write2_b32 v33, v0, v1 offset0:104 offset1:117
	s_waitcnt lgkmcnt(0)
	; wave barrier
	s_waitcnt lgkmcnt(0)
	ds_read2_b32 v[0:1], v28 offset1:26
	ds_read2_b32 v[2:3], v28 offset0:104 offset1:130
	ds_read2_b32 v[4:5], v28 offset0:156 offset1:182
	;; [unrolled: 1-line block ×4, first 2 shown]
	s_waitcnt lgkmcnt(4)
	v_lshrrev_b32_e32 v11, 16, v0
	s_waitcnt lgkmcnt(3)
	v_lshrrev_b32_e32 v12, 16, v3
	v_mul_f16_sdwa v24, v34, v12 dst_sel:DWORD dst_unused:UNUSED_PAD src0_sel:WORD_1 src1_sel:DWORD
	s_waitcnt lgkmcnt(2)
	v_lshrrev_b32_e32 v14, 16, v4
	v_fma_f16 v24, v34, v3, v24
	v_mul_f16_sdwa v3, v34, v3 dst_sel:DWORD dst_unused:UNUSED_PAD src0_sel:WORD_1 src1_sel:DWORD
	v_fma_f16 v3, v34, v12, -v3
	v_mul_f16_sdwa v12, v35, v14 dst_sel:DWORD dst_unused:UNUSED_PAD src0_sel:WORD_1 src1_sel:DWORD
	v_lshrrev_b32_e32 v16, 16, v5
	v_fma_f16 v12, v35, v4, v12
	v_mul_f16_sdwa v4, v35, v4 dst_sel:DWORD dst_unused:UNUSED_PAD src0_sel:WORD_1 src1_sel:DWORD
	v_fma_f16 v4, v35, v14, -v4
	v_mul_f16_sdwa v14, v36, v16 dst_sel:DWORD dst_unused:UNUSED_PAD src0_sel:WORD_1 src1_sel:DWORD
	s_waitcnt lgkmcnt(0)
	v_lshrrev_b32_e32 v18, 16, v9
	v_fma_f16 v14, v36, v5, v14
	v_mul_f16_sdwa v5, v36, v5 dst_sel:DWORD dst_unused:UNUSED_PAD src0_sel:WORD_1 src1_sel:DWORD
	v_fma_f16 v5, v36, v16, -v5
	v_mul_f16_sdwa v16, v37, v18 dst_sel:DWORD dst_unused:UNUSED_PAD src0_sel:WORD_1 src1_sel:DWORD
	v_lshrrev_b32_e32 v20, 16, v10
	v_fma_f16 v16, v37, v9, v16
	v_mul_f16_sdwa v9, v37, v9 dst_sel:DWORD dst_unused:UNUSED_PAD src0_sel:WORD_1 src1_sel:DWORD
	v_fma_f16 v9, v37, v18, -v9
	v_mul_f16_sdwa v18, v38, v20 dst_sel:DWORD dst_unused:UNUSED_PAD src0_sel:WORD_1 src1_sel:DWORD
	v_lshrrev_b32_e32 v13, 16, v1
	v_fma_f16 v18, v38, v10, v18
	v_mul_f16_sdwa v10, v38, v10 dst_sel:DWORD dst_unused:UNUSED_PAD src0_sel:WORD_1 src1_sel:DWORD
	v_fma_f16 v10, v38, v20, -v10
	v_sub_f16_e32 v20, v0, v24
	v_sub_f16_e32 v3, v11, v3
	;; [unrolled: 1-line block ×4, first 2 shown]
	v_lshrrev_b32_e32 v15, 16, v6
	v_lshrrev_b32_e32 v17, 16, v7
	v_fma_f16 v0, v0, 2.0, -v20
	v_fma_f16 v11, v11, 2.0, -v3
	;; [unrolled: 1-line block ×4, first 2 shown]
	v_sub_f16_e32 v14, v6, v14
	v_sub_f16_e32 v5, v15, v5
	;; [unrolled: 1-line block ×4, first 2 shown]
	v_pack_b32_f16 v0, v0, v11
	v_pack_b32_f16 v1, v1, v13
	v_lshrrev_b32_e32 v19, 16, v2
	v_fma_f16 v6, v6, 2.0, -v14
	v_fma_f16 v15, v15, 2.0, -v5
	;; [unrolled: 1-line block ×4, first 2 shown]
	ds_write2_b32 v31, v0, v1 offset1:26
	v_pack_b32_f16 v0, v12, v4
	v_pack_b32_f16 v4, v14, v5
	v_sub_f16_e32 v18, v2, v18
	v_sub_f16_e32 v10, v19, v10
	v_pack_b32_f16 v1, v6, v15
	ds_write2_b32 v31, v0, v4 offset0:156 offset1:182
	v_pack_b32_f16 v0, v7, v17
	v_fma_f16 v2, v2, 2.0, -v18
	v_fma_f16 v19, v19, 2.0, -v10
	ds_write2_b32 v31, v1, v0 offset0:52 offset1:78
	v_pack_b32_f16 v0, v16, v9
	v_pack_b32_f16 v3, v20, v3
	ds_write_b32 v31, v0 offset:832
	v_pack_b32_f16 v0, v2, v19
	ds_write2_b32 v31, v0, v3 offset0:104 offset1:130
	v_pack_b32_f16 v0, v18, v10
	ds_write_b32 v40, v0 offset:520
	s_waitcnt lgkmcnt(0)
	; wave barrier
	s_waitcnt lgkmcnt(0)
	s_and_b64 exec, exec, vcc
	s_cbranch_execz .LBB0_15
; %bb.14:
	global_load_dword v6, v22, s[6:7]
	global_load_dword v10, v22, s[6:7] offset:80
	ds_read_b32 v7, v31
	v_mad_u64_u32 v[0:1], s[0:1], s10, v8, 0
	v_mad_u64_u32 v[2:3], s[0:1], s8, v21, 0
	v_mov_b32_e32 v4, 0x7c00
	v_lshl_add_u32 v5, v23, 2, v22
	v_mad_u64_u32 v[18:19], s[0:1], s11, v8, v[1:2]
	s_waitcnt lgkmcnt(0)
	v_lshrrev_b32_e32 v1, 16, v7
	v_mad_u64_u32 v[19:20], s[0:1], s9, v21, v[3:4]
	s_mov_b32 s14, 0x1f81f820
	s_mov_b32 s15, 0x3f6f81f8
	v_mov_b32_e32 v3, v19
	s_movk_i32 s18, 0x1ff
	s_movk_i32 s17, 0xffe
	global_load_dword v11, v22, s[6:7] offset:160
	global_load_dword v12, v22, s[6:7] offset:240
	global_load_dword v13, v22, s[6:7] offset:320
	global_load_dword v14, v22, s[6:7] offset:400
	global_load_dword v15, v22, s[6:7] offset:480
	global_load_dword v9, v22, s[6:7] offset:560
	ds_read2_b32 v[16:17], v5 offset0:20 offset1:40
	s_movk_i32 s16, 0x40f
	s_mov_b32 s10, 0x8000
	s_waitcnt vmcnt(7)
	v_mul_f16_sdwa v8, v1, v6 dst_sel:DWORD dst_unused:UNUSED_PAD src0_sel:DWORD src1_sel:WORD_1
	v_fma_f16 v8, v7, v6, v8
	v_mul_f16_sdwa v7, v7, v6 dst_sel:DWORD dst_unused:UNUSED_PAD src0_sel:DWORD src1_sel:WORD_1
	v_cvt_f32_f16_e32 v8, v8
	v_fma_f16 v1, v6, v1, -v7
	v_cvt_f32_f16_e32 v1, v1
	v_cvt_f64_f32_e32 v[6:7], v8
	s_waitcnt lgkmcnt(0)
	v_lshrrev_b32_e32 v8, 16, v16
	v_cvt_f64_f32_e32 v[23:24], v1
	v_mov_b32_e32 v1, v18
	v_mul_f64 v[6:7], v[6:7], s[14:15]
	s_waitcnt vmcnt(6)
	v_mul_f16_sdwa v20, v8, v10 dst_sel:DWORD dst_unused:UNUSED_PAD src0_sel:DWORD src1_sel:WORD_1
	v_mul_f64 v[18:19], v[23:24], s[14:15]
	v_fma_f16 v20, v16, v10, v20
	v_cvt_f32_f16_e32 v20, v20
	v_lshlrev_b64 v[0:1], 2, v[0:1]
	v_mul_f16_sdwa v16, v16, v10 dst_sel:DWORD dst_unused:UNUSED_PAD src0_sel:DWORD src1_sel:WORD_1
	v_fma_f16 v8, v10, v8, -v16
	v_and_or_b32 v6, v7, s18, v6
	v_cmp_ne_u32_e32 vcc, 0, v6
	v_and_or_b32 v18, v19, s18, v18
	v_lshrrev_b32_e32 v23, 8, v7
	v_bfe_u32 v24, v7, 20, 11
	v_cndmask_b32_e64 v6, 0, 1, vcc
	v_cmp_ne_u32_e32 vcc, 0, v18
	v_lshrrev_b32_e32 v25, 8, v19
	v_bfe_u32 v26, v19, 20, 11
	v_sub_u32_e32 v27, 0x3f1, v24
	v_cndmask_b32_e64 v18, 0, 1, vcc
	v_and_or_b32 v6, v23, s17, v6
	v_sub_u32_e32 v28, 0x3f1, v26
	v_med3_i32 v23, v27, 0, 13
	v_and_or_b32 v18, v25, s17, v18
	v_or_b32_e32 v27, 0x1000, v6
	v_add_u32_e32 v24, 0xfffffc10, v24
	v_med3_i32 v25, v28, 0, 13
	v_cmp_ne_u32_e32 vcc, 0, v6
	v_or_b32_e32 v29, 0x1000, v18
	v_lshrrev_b32_e32 v31, v23, v27
	v_add_u32_e32 v26, 0xfffffc10, v26
	v_lshl_or_b32 v28, v24, 12, v6
	v_cndmask_b32_e64 v6, 0, 1, vcc
	v_cmp_ne_u32_e32 vcc, 0, v18
	v_lshrrev_b32_e32 v32, v25, v29
	v_lshlrev_b32_e32 v23, v23, v31
	v_lshl_or_b32 v30, v26, 12, v18
	v_cndmask_b32_e64 v18, 0, 1, vcc
	v_lshlrev_b32_e32 v25, v25, v32
	v_cmp_ne_u32_e32 vcc, v23, v27
	v_cndmask_b32_e64 v23, 0, 1, vcc
	v_cmp_ne_u32_e32 vcc, v25, v29
	v_cndmask_b32_e64 v25, 0, 1, vcc
	v_or_b32_e32 v23, v31, v23
	v_cmp_gt_i32_e32 vcc, 1, v24
	v_cndmask_b32_e32 v23, v28, v23, vcc
	v_or_b32_e32 v25, v32, v25
	v_cmp_gt_i32_e32 vcc, 1, v26
	v_and_b32_e32 v27, 7, v23
	v_cndmask_b32_e32 v25, v30, v25, vcc
	v_cmp_lt_i32_e32 vcc, 5, v27
	v_cmp_eq_u32_e64 s[0:1], 3, v27
	v_lshrrev_b32_e32 v23, 2, v23
	v_and_b32_e32 v28, 7, v25
	s_or_b64 vcc, s[0:1], vcc
	v_cmp_lt_i32_e64 s[2:3], 5, v28
	v_cmp_eq_u32_e64 s[4:5], 3, v28
	v_addc_co_u32_e32 v23, vcc, 0, v23, vcc
	v_lshrrev_b32_e32 v25, 2, v25
	s_or_b64 vcc, s[4:5], s[2:3]
	v_addc_co_u32_e32 v25, vcc, 0, v25, vcc
	v_cmp_gt_i32_e32 vcc, 31, v24
	v_cndmask_b32_e32 v23, v4, v23, vcc
	v_cmp_gt_i32_e32 vcc, 31, v26
	v_lshl_or_b32 v6, v6, 9, v4
	v_cndmask_b32_e32 v25, v4, v25, vcc
	v_cmp_eq_u32_e32 vcc, s16, v24
	v_lshrrev_b32_e32 v7, 16, v7
	v_lshl_or_b32 v18, v18, 9, v4
	v_cndmask_b32_e32 v6, v23, v6, vcc
	v_cmp_eq_u32_e32 vcc, s16, v26
	v_lshrrev_b32_e32 v19, 16, v19
	v_cndmask_b32_e32 v18, v25, v18, vcc
	v_and_or_b32 v6, v7, s10, v6
	v_and_or_b32 v18, v19, s10, v18
	v_and_b32_e32 v19, 0xffff, v6
	v_cvt_f64_f32_e32 v[6:7], v20
	v_lshl_or_b32 v20, v18, 16, v19
	v_mov_b32_e32 v23, s13
	v_cvt_f32_f16_e32 v8, v8
	v_mul_f64 v[18:19], v[6:7], s[14:15]
	v_add_co_u32_e32 v6, vcc, s12, v0
	v_addc_co_u32_e32 v7, vcc, v23, v1, vcc
	v_lshlrev_b64 v[0:1], 2, v[2:3]
	s_mul_hi_u32 s2, s8, 0x50
	v_add_co_u32_e32 v0, vcc, v6, v0
	v_addc_co_u32_e32 v1, vcc, v7, v1, vcc
	v_and_or_b32 v2, v19, s18, v18
	v_cmp_ne_u32_e32 vcc, 0, v2
	v_cndmask_b32_e64 v2, 0, 1, vcc
	v_lshrrev_b32_e32 v3, 8, v19
	v_and_or_b32 v18, v3, s17, v2
	v_bfe_u32 v3, v19, 20, 11
	global_store_dword v[0:1], v20, off
	v_sub_u32_e32 v20, 0x3f1, v3
	v_or_b32_e32 v2, 0x1000, v18
	v_med3_i32 v20, v20, 0, 13
	v_lshrrev_b32_e32 v23, v20, v2
	v_lshlrev_b32_e32 v20, v20, v23
	v_cmp_ne_u32_e32 vcc, v20, v2
	v_cndmask_b32_e64 v2, 0, 1, vcc
	v_add_u32_e32 v20, 0xfffffc10, v3
	v_or_b32_e32 v2, v23, v2
	v_lshl_or_b32 v3, v20, 12, v18
	v_cmp_gt_i32_e32 vcc, 1, v20
	v_cndmask_b32_e32 v2, v3, v2, vcc
	v_and_b32_e32 v3, 7, v2
	v_cmp_lt_i32_e32 vcc, 5, v3
	v_cmp_eq_u32_e64 s[0:1], 3, v3
	v_lshrrev_b32_e32 v10, 2, v2
	v_cvt_f64_f32_e32 v[2:3], v8
	s_or_b64 vcc, s[0:1], vcc
	v_addc_co_u32_e32 v8, vcc, 0, v10, vcc
	v_mul_f64 v[2:3], v[2:3], s[14:15]
	v_cmp_gt_i32_e32 vcc, 31, v20
	v_cndmask_b32_e32 v8, v4, v8, vcc
	v_cmp_ne_u32_e32 vcc, 0, v18
	v_cndmask_b32_e64 v10, 0, 1, vcc
	v_lshl_or_b32 v10, v10, 9, v4
	v_cmp_eq_u32_e32 vcc, s16, v20
	v_cndmask_b32_e32 v8, v8, v10, vcc
	v_and_or_b32 v2, v3, s18, v2
	v_lshrrev_b32_e32 v10, 16, v19
	v_cmp_ne_u32_e32 vcc, 0, v2
	v_and_or_b32 v8, v10, s10, v8
	v_cndmask_b32_e64 v2, 0, 1, vcc
	v_lshrrev_b32_e32 v10, 8, v3
	v_bfe_u32 v16, v3, 20, 11
	v_and_or_b32 v2, v10, s17, v2
	v_sub_u32_e32 v18, 0x3f1, v16
	v_or_b32_e32 v10, 0x1000, v2
	v_med3_i32 v18, v18, 0, 13
	v_lshrrev_b32_e32 v19, v18, v10
	v_lshlrev_b32_e32 v18, v18, v19
	v_cmp_ne_u32_e32 vcc, v18, v10
	v_cndmask_b32_e64 v10, 0, 1, vcc
	v_add_u32_e32 v16, 0xfffffc10, v16
	v_or_b32_e32 v10, v19, v10
	v_lshl_or_b32 v18, v16, 12, v2
	v_cmp_gt_i32_e32 vcc, 1, v16
	v_cndmask_b32_e32 v10, v18, v10, vcc
	v_and_b32_e32 v18, 7, v10
	v_cmp_lt_i32_e32 vcc, 5, v18
	v_cmp_eq_u32_e64 s[0:1], 3, v18
	v_lshrrev_b32_e32 v10, 2, v10
	s_or_b64 vcc, s[0:1], vcc
	v_addc_co_u32_e32 v10, vcc, 0, v10, vcc
	v_cmp_gt_i32_e32 vcc, 31, v16
	v_cndmask_b32_e32 v10, v4, v10, vcc
	v_cmp_ne_u32_e32 vcc, 0, v2
	v_cndmask_b32_e64 v2, 0, 1, vcc
	v_lshl_or_b32 v2, v2, 9, v4
	v_cmp_eq_u32_e32 vcc, s16, v16
	v_cndmask_b32_e32 v2, v10, v2, vcc
	v_lshrrev_b32_e32 v10, 16, v17
	s_waitcnt vmcnt(6)
	v_mul_f16_sdwa v16, v10, v11 dst_sel:DWORD dst_unused:UNUSED_PAD src0_sel:DWORD src1_sel:WORD_1
	v_fma_f16 v16, v17, v11, v16
	v_cvt_f32_f16_e32 v16, v16
	v_lshrrev_b32_e32 v3, 16, v3
	v_and_or_b32 v2, v3, s10, v2
	v_and_b32_e32 v3, 0xffff, v8
	v_lshl_or_b32 v8, v2, 16, v3
	v_cvt_f64_f32_e32 v[2:3], v16
	s_mul_i32 s0, s9, 0x50
	s_add_i32 s2, s2, s0
	s_mul_i32 s3, s8, 0x50
	v_mul_f64 v[2:3], v[2:3], s[14:15]
	v_mov_b32_e32 v16, s2
	v_add_co_u32_e32 v0, vcc, s3, v0
	v_addc_co_u32_e32 v1, vcc, v1, v16, vcc
	global_store_dword v[0:1], v8, off
	v_mul_f16_sdwa v17, v17, v11 dst_sel:DWORD dst_unused:UNUSED_PAD src0_sel:DWORD src1_sel:WORD_1
	v_and_or_b32 v2, v3, s18, v2
	v_cmp_ne_u32_e32 vcc, 0, v2
	v_cndmask_b32_e64 v2, 0, 1, vcc
	v_lshrrev_b32_e32 v8, 8, v3
	v_bfe_u32 v16, v3, 20, 11
	v_and_or_b32 v2, v8, s17, v2
	v_sub_u32_e32 v18, 0x3f1, v16
	v_fma_f16 v10, v11, v10, -v17
	v_or_b32_e32 v8, 0x1000, v2
	v_med3_i32 v18, v18, 0, 13
	v_cvt_f32_f16_e32 v10, v10
	v_lshrrev_b32_e32 v19, v18, v8
	v_lshlrev_b32_e32 v18, v18, v19
	v_cmp_ne_u32_e32 vcc, v18, v8
	v_cndmask_b32_e64 v8, 0, 1, vcc
	v_add_u32_e32 v16, 0xfffffc10, v16
	v_cvt_f64_f32_e32 v[10:11], v10
	v_or_b32_e32 v8, v19, v8
	v_lshl_or_b32 v18, v16, 12, v2
	v_cmp_gt_i32_e32 vcc, 1, v16
	v_cndmask_b32_e32 v8, v18, v8, vcc
	v_and_b32_e32 v18, 7, v8
	v_cmp_lt_i32_e32 vcc, 5, v18
	v_cmp_eq_u32_e64 s[0:1], 3, v18
	v_mul_f64 v[10:11], v[10:11], s[14:15]
	v_lshrrev_b32_e32 v8, 2, v8
	s_or_b64 vcc, s[0:1], vcc
	v_addc_co_u32_e32 v8, vcc, 0, v8, vcc
	v_cmp_gt_i32_e32 vcc, 31, v16
	v_cndmask_b32_e32 v8, v4, v8, vcc
	v_cmp_ne_u32_e32 vcc, 0, v2
	v_cndmask_b32_e64 v2, 0, 1, vcc
	v_lshl_or_b32 v2, v2, 9, v4
	v_cmp_eq_u32_e32 vcc, s16, v16
	v_cndmask_b32_e32 v2, v8, v2, vcc
	v_lshrrev_b32_e32 v3, 16, v3
	v_and_or_b32 v8, v3, s10, v2
	v_and_or_b32 v2, v11, s18, v10
	v_cmp_ne_u32_e32 vcc, 0, v2
	v_cndmask_b32_e64 v2, 0, 1, vcc
	v_lshrrev_b32_e32 v3, 8, v11
	v_and_or_b32 v10, v3, s17, v2
	v_bfe_u32 v3, v11, 20, 11
	v_sub_u32_e32 v16, 0x3f1, v3
	v_or_b32_e32 v2, 0x1000, v10
	v_med3_i32 v16, v16, 0, 13
	v_lshrrev_b32_e32 v17, v16, v2
	v_lshlrev_b32_e32 v16, v16, v17
	v_cmp_ne_u32_e32 vcc, v16, v2
	v_cndmask_b32_e64 v2, 0, 1, vcc
	v_add_u32_e32 v16, 0xfffffc10, v3
	v_or_b32_e32 v2, v17, v2
	v_lshl_or_b32 v3, v16, 12, v10
	v_cmp_gt_i32_e32 vcc, 1, v16
	v_cndmask_b32_e32 v2, v3, v2, vcc
	v_and_b32_e32 v3, 7, v2
	v_cmp_lt_i32_e32 vcc, 5, v3
	v_cmp_eq_u32_e64 s[0:1], 3, v3
	v_lshrrev_b32_e32 v2, 2, v2
	s_or_b64 vcc, s[0:1], vcc
	v_addc_co_u32_e32 v17, vcc, 0, v2, vcc
	ds_read2_b32 v[2:3], v5 offset0:60 offset1:80
	v_cmp_gt_i32_e32 vcc, 31, v16
	v_cndmask_b32_e32 v17, v4, v17, vcc
	v_cmp_ne_u32_e32 vcc, 0, v10
	v_cndmask_b32_e64 v10, 0, 1, vcc
	s_waitcnt lgkmcnt(0)
	v_lshrrev_b32_e32 v18, 16, v2
	s_waitcnt vmcnt(6)
	v_mul_f16_sdwa v19, v18, v12 dst_sel:DWORD dst_unused:UNUSED_PAD src0_sel:DWORD src1_sel:WORD_1
	v_fma_f16 v19, v2, v12, v19
	v_cvt_f32_f16_e32 v19, v19
	v_lshl_or_b32 v10, v10, 9, v4
	v_cmp_eq_u32_e32 vcc, s16, v16
	v_cndmask_b32_e32 v10, v17, v10, vcc
	v_cvt_f64_f32_e32 v[16:17], v19
	v_lshrrev_b32_e32 v11, 16, v11
	v_and_or_b32 v19, v11, s10, v10
	v_and_b32_e32 v8, 0xffff, v8
	v_mul_f64 v[10:11], v[16:17], s[14:15]
	v_mov_b32_e32 v16, s2
	v_add_co_u32_e32 v0, vcc, s3, v0
	v_lshl_or_b32 v8, v19, 16, v8
	v_addc_co_u32_e32 v1, vcc, v1, v16, vcc
	global_store_dword v[0:1], v8, off
	v_and_or_b32 v8, v11, s18, v10
	v_cmp_ne_u32_e32 vcc, 0, v8
	v_cndmask_b32_e64 v8, 0, 1, vcc
	v_lshrrev_b32_e32 v10, 8, v11
	v_bfe_u32 v16, v11, 20, 11
	v_and_or_b32 v8, v10, s17, v8
	v_sub_u32_e32 v17, 0x3f1, v16
	v_or_b32_e32 v10, 0x1000, v8
	v_med3_i32 v17, v17, 0, 13
	v_lshrrev_b32_e32 v19, v17, v10
	v_lshlrev_b32_e32 v17, v17, v19
	v_cmp_ne_u32_e32 vcc, v17, v10
	v_mul_f16_sdwa v2, v2, v12 dst_sel:DWORD dst_unused:UNUSED_PAD src0_sel:DWORD src1_sel:WORD_1
	v_cndmask_b32_e64 v10, 0, 1, vcc
	v_fma_f16 v2, v12, v18, -v2
	v_or_b32_e32 v10, v19, v10
	v_add_u32_e32 v19, 0xfffffc10, v16
	v_cvt_f32_f16_e32 v2, v2
	v_lshl_or_b32 v16, v19, 12, v8
	v_cmp_gt_i32_e32 vcc, 1, v19
	v_cndmask_b32_e32 v10, v16, v10, vcc
	v_and_b32_e32 v16, 7, v10
	v_cmp_lt_i32_e32 vcc, 5, v16
	v_cmp_eq_u32_e64 s[0:1], 3, v16
	v_cvt_f64_f32_e32 v[16:17], v2
	v_lshrrev_b32_e32 v10, 2, v10
	s_or_b64 vcc, s[0:1], vcc
	v_addc_co_u32_e32 v2, vcc, 0, v10, vcc
	v_mul_f64 v[16:17], v[16:17], s[14:15]
	v_cmp_gt_i32_e32 vcc, 31, v19
	v_cndmask_b32_e32 v2, v4, v2, vcc
	v_cmp_ne_u32_e32 vcc, 0, v8
	v_cndmask_b32_e64 v8, 0, 1, vcc
	v_lshl_or_b32 v8, v8, 9, v4
	v_cmp_eq_u32_e32 vcc, s16, v19
	v_cndmask_b32_e32 v2, v2, v8, vcc
	v_lshrrev_b32_e32 v8, 16, v11
	v_and_or_b32 v2, v8, s10, v2
	v_and_or_b32 v8, v17, s18, v16
	v_cmp_ne_u32_e32 vcc, 0, v8
	v_cndmask_b32_e64 v8, 0, 1, vcc
	v_lshrrev_b32_e32 v10, 8, v17
	v_bfe_u32 v11, v17, 20, 11
	v_and_or_b32 v8, v10, s17, v8
	v_sub_u32_e32 v12, 0x3f1, v11
	v_or_b32_e32 v10, 0x1000, v8
	v_med3_i32 v12, v12, 0, 13
	v_lshrrev_b32_e32 v16, v12, v10
	v_lshlrev_b32_e32 v12, v12, v16
	v_cmp_ne_u32_e32 vcc, v12, v10
	v_cndmask_b32_e64 v10, 0, 1, vcc
	v_add_u32_e32 v11, 0xfffffc10, v11
	v_or_b32_e32 v10, v16, v10
	v_lshl_or_b32 v12, v11, 12, v8
	v_cmp_gt_i32_e32 vcc, 1, v11
	v_cndmask_b32_e32 v10, v12, v10, vcc
	v_and_b32_e32 v12, 7, v10
	v_cmp_lt_i32_e32 vcc, 5, v12
	v_cmp_eq_u32_e64 s[0:1], 3, v12
	v_lshrrev_b32_e32 v12, 16, v3
	v_lshrrev_b32_e32 v10, 2, v10
	s_or_b64 vcc, s[0:1], vcc
	s_waitcnt vmcnt(6)
	v_mul_f16_sdwa v16, v12, v13 dst_sel:DWORD dst_unused:UNUSED_PAD src0_sel:DWORD src1_sel:WORD_1
	v_addc_co_u32_e32 v10, vcc, 0, v10, vcc
	v_fma_f16 v16, v3, v13, v16
	v_cmp_gt_i32_e32 vcc, 31, v11
	v_cvt_f32_f16_e32 v16, v16
	v_cndmask_b32_e32 v10, v4, v10, vcc
	v_cmp_ne_u32_e32 vcc, 0, v8
	v_cndmask_b32_e64 v8, 0, 1, vcc
	v_lshl_or_b32 v8, v8, 9, v4
	v_cmp_eq_u32_e32 vcc, s16, v11
	v_cndmask_b32_e32 v8, v10, v8, vcc
	v_cvt_f64_f32_e32 v[10:11], v16
	v_lshrrev_b32_e32 v16, 16, v17
	v_and_or_b32 v8, v16, s10, v8
	v_and_b32_e32 v2, 0xffff, v2
	v_mul_f64 v[10:11], v[10:11], s[14:15]
	v_lshl_or_b32 v2, v8, 16, v2
	v_mov_b32_e32 v8, s2
	v_add_co_u32_e32 v0, vcc, s3, v0
	v_addc_co_u32_e32 v1, vcc, v1, v8, vcc
	global_store_dword v[0:1], v2, off
	v_and_or_b32 v2, v11, s18, v10
	v_cmp_ne_u32_e32 vcc, 0, v2
	v_cndmask_b32_e64 v2, 0, 1, vcc
	v_lshrrev_b32_e32 v8, 8, v11
	v_bfe_u32 v10, v11, 20, 11
	v_and_or_b32 v8, v8, s17, v2
	v_sub_u32_e32 v16, 0x3f1, v10
	v_or_b32_e32 v2, 0x1000, v8
	v_med3_i32 v16, v16, 0, 13
	v_lshrrev_b32_e32 v17, v16, v2
	v_mul_f16_sdwa v3, v3, v13 dst_sel:DWORD dst_unused:UNUSED_PAD src0_sel:DWORD src1_sel:WORD_1
	v_lshlrev_b32_e32 v16, v16, v17
	v_fma_f16 v3, v13, v12, -v3
	v_cmp_ne_u32_e32 vcc, v16, v2
	v_cvt_f32_f16_e32 v3, v3
	v_cndmask_b32_e64 v2, 0, 1, vcc
	v_add_u32_e32 v10, 0xfffffc10, v10
	v_or_b32_e32 v2, v17, v2
	v_lshl_or_b32 v16, v10, 12, v8
	v_cmp_gt_i32_e32 vcc, 1, v10
	v_cndmask_b32_e32 v2, v16, v2, vcc
	v_and_b32_e32 v16, 7, v2
	v_lshrrev_b32_e32 v12, 2, v2
	v_cvt_f64_f32_e32 v[2:3], v3
	v_cmp_lt_i32_e32 vcc, 5, v16
	v_cmp_eq_u32_e64 s[0:1], 3, v16
	s_or_b64 vcc, s[0:1], vcc
	v_mul_f64 v[2:3], v[2:3], s[14:15]
	v_addc_co_u32_e32 v12, vcc, 0, v12, vcc
	v_cmp_gt_i32_e32 vcc, 31, v10
	v_cndmask_b32_e32 v12, v4, v12, vcc
	v_cmp_ne_u32_e32 vcc, 0, v8
	v_cndmask_b32_e64 v8, 0, 1, vcc
	v_lshl_or_b32 v8, v8, 9, v4
	v_cmp_eq_u32_e32 vcc, s16, v10
	v_and_or_b32 v2, v3, s18, v2
	v_cndmask_b32_e32 v8, v12, v8, vcc
	v_lshrrev_b32_e32 v10, 16, v11
	v_cmp_ne_u32_e32 vcc, 0, v2
	v_and_or_b32 v8, v10, s10, v8
	v_cndmask_b32_e64 v2, 0, 1, vcc
	v_lshrrev_b32_e32 v10, 8, v3
	v_bfe_u32 v11, v3, 20, 11
	v_and_or_b32 v2, v10, s17, v2
	v_sub_u32_e32 v12, 0x3f1, v11
	v_or_b32_e32 v10, 0x1000, v2
	v_med3_i32 v12, v12, 0, 13
	v_lshrrev_b32_e32 v13, v12, v10
	v_lshlrev_b32_e32 v12, v12, v13
	v_cmp_ne_u32_e32 vcc, v12, v10
	v_cndmask_b32_e64 v10, 0, 1, vcc
	v_add_u32_e32 v12, 0xfffffc10, v11
	v_or_b32_e32 v10, v13, v10
	v_lshl_or_b32 v11, v12, 12, v2
	v_cmp_gt_i32_e32 vcc, 1, v12
	v_cndmask_b32_e32 v10, v11, v10, vcc
	v_and_b32_e32 v11, 7, v10
	v_cmp_lt_i32_e32 vcc, 5, v11
	v_cmp_eq_u32_e64 s[0:1], 3, v11
	v_lshrrev_b32_e32 v10, 2, v10
	s_or_b64 vcc, s[0:1], vcc
	v_addc_co_u32_e32 v13, vcc, 0, v10, vcc
	ds_read2_b32 v[10:11], v5 offset0:100 offset1:120
	v_cmp_gt_i32_e32 vcc, 31, v12
	v_cndmask_b32_e32 v13, v4, v13, vcc
	v_cmp_ne_u32_e32 vcc, 0, v2
	v_cndmask_b32_e64 v2, 0, 1, vcc
	s_waitcnt lgkmcnt(0)
	v_lshrrev_b32_e32 v16, 16, v10
	s_waitcnt vmcnt(6)
	v_mul_f16_sdwa v17, v16, v14 dst_sel:DWORD dst_unused:UNUSED_PAD src0_sel:DWORD src1_sel:WORD_1
	v_fma_f16 v17, v10, v14, v17
	v_cvt_f32_f16_e32 v17, v17
	v_lshl_or_b32 v2, v2, 9, v4
	v_cmp_eq_u32_e32 vcc, s16, v12
	v_cndmask_b32_e32 v2, v13, v2, vcc
	v_cvt_f64_f32_e32 v[12:13], v17
	v_lshrrev_b32_e32 v3, 16, v3
	v_and_or_b32 v17, v3, s10, v2
	v_add_co_u32_e32 v0, vcc, s3, v0
	v_mul_f64 v[2:3], v[12:13], s[14:15]
	v_mov_b32_e32 v12, s2
	v_and_b32_e32 v8, 0xffff, v8
	v_addc_co_u32_e32 v1, vcc, v1, v12, vcc
	v_lshl_or_b32 v8, v17, 16, v8
	global_store_dword v[0:1], v8, off
	v_mul_f16_sdwa v10, v10, v14 dst_sel:DWORD dst_unused:UNUSED_PAD src0_sel:DWORD src1_sel:WORD_1
	v_and_or_b32 v2, v3, s18, v2
	v_cmp_ne_u32_e32 vcc, 0, v2
	v_cndmask_b32_e64 v2, 0, 1, vcc
	v_lshrrev_b32_e32 v8, 8, v3
	v_bfe_u32 v12, v3, 20, 11
	v_and_or_b32 v2, v8, s17, v2
	v_sub_u32_e32 v13, 0x3f1, v12
	v_or_b32_e32 v8, 0x1000, v2
	v_med3_i32 v13, v13, 0, 13
	v_lshrrev_b32_e32 v17, v13, v8
	v_lshlrev_b32_e32 v13, v13, v17
	v_cmp_ne_u32_e32 vcc, v13, v8
	v_cndmask_b32_e64 v8, 0, 1, vcc
	v_fma_f16 v10, v14, v16, -v10
	v_or_b32_e32 v8, v17, v8
	v_add_u32_e32 v17, 0xfffffc10, v12
	v_cvt_f32_f16_e32 v10, v10
	v_lshl_or_b32 v12, v17, 12, v2
	v_cmp_gt_i32_e32 vcc, 1, v17
	v_cndmask_b32_e32 v8, v12, v8, vcc
	v_and_b32_e32 v12, 7, v8
	v_cmp_lt_i32_e32 vcc, 5, v12
	v_cmp_eq_u32_e64 s[0:1], 3, v12
	v_cvt_f64_f32_e32 v[12:13], v10
	v_lshrrev_b32_e32 v8, 2, v8
	s_or_b64 vcc, s[0:1], vcc
	v_addc_co_u32_e32 v8, vcc, 0, v8, vcc
	v_mul_f64 v[12:13], v[12:13], s[14:15]
	v_cmp_gt_i32_e32 vcc, 31, v17
	v_cndmask_b32_e32 v8, v4, v8, vcc
	v_cmp_ne_u32_e32 vcc, 0, v2
	v_cndmask_b32_e64 v2, 0, 1, vcc
	v_lshl_or_b32 v2, v2, 9, v4
	v_cmp_eq_u32_e32 vcc, s16, v17
	v_cndmask_b32_e32 v2, v8, v2, vcc
	v_lshrrev_b32_e32 v3, 16, v3
	v_and_or_b32 v8, v3, s10, v2
	v_and_or_b32 v2, v13, s18, v12
	v_cmp_ne_u32_e32 vcc, 0, v2
	v_cndmask_b32_e64 v2, 0, 1, vcc
	v_lshrrev_b32_e32 v3, 8, v13
	v_bfe_u32 v10, v13, 20, 11
	v_and_or_b32 v2, v3, s17, v2
	v_sub_u32_e32 v12, 0x3f1, v10
	v_or_b32_e32 v3, 0x1000, v2
	v_med3_i32 v12, v12, 0, 13
	v_lshrrev_b32_e32 v14, v12, v3
	v_lshlrev_b32_e32 v12, v12, v14
	v_cmp_ne_u32_e32 vcc, v12, v3
	v_cndmask_b32_e64 v3, 0, 1, vcc
	v_add_u32_e32 v10, 0xfffffc10, v10
	v_or_b32_e32 v3, v14, v3
	v_lshl_or_b32 v12, v10, 12, v2
	v_cmp_gt_i32_e32 vcc, 1, v10
	v_cndmask_b32_e32 v3, v12, v3, vcc
	v_and_b32_e32 v12, 7, v3
	v_cmp_lt_i32_e32 vcc, 5, v12
	v_cmp_eq_u32_e64 s[0:1], 3, v12
	v_lshrrev_b32_e32 v14, 16, v11
	v_lshrrev_b32_e32 v3, 2, v3
	s_or_b64 vcc, s[0:1], vcc
	s_waitcnt vmcnt(6)
	v_mul_f16_sdwa v12, v14, v15 dst_sel:DWORD dst_unused:UNUSED_PAD src0_sel:DWORD src1_sel:WORD_1
	v_addc_co_u32_e32 v3, vcc, 0, v3, vcc
	v_fma_f16 v12, v11, v15, v12
	v_cmp_gt_i32_e32 vcc, 31, v10
	v_cvt_f32_f16_e32 v12, v12
	v_cndmask_b32_e32 v3, v4, v3, vcc
	v_cmp_ne_u32_e32 vcc, 0, v2
	v_cndmask_b32_e64 v2, 0, 1, vcc
	v_lshl_or_b32 v2, v2, 9, v4
	v_cmp_eq_u32_e32 vcc, s16, v10
	v_cndmask_b32_e32 v10, v3, v2, vcc
	v_cvt_f64_f32_e32 v[2:3], v12
	v_lshrrev_b32_e32 v12, 16, v13
	v_and_or_b32 v10, v12, s10, v10
	v_and_b32_e32 v8, 0xffff, v8
	v_mul_f64 v[2:3], v[2:3], s[14:15]
	v_lshl_or_b32 v8, v10, 16, v8
	v_mov_b32_e32 v10, s2
	v_add_co_u32_e32 v12, vcc, s3, v0
	v_addc_co_u32_e32 v13, vcc, v1, v10, vcc
	global_store_dword v[12:13], v8, off
	v_and_or_b32 v0, v3, s18, v2
	v_cmp_ne_u32_e32 vcc, 0, v0
	v_cndmask_b32_e64 v0, 0, 1, vcc
	v_lshrrev_b32_e32 v1, 8, v3
	v_and_or_b32 v8, v1, s17, v0
	v_bfe_u32 v1, v3, 20, 11
	v_sub_u32_e32 v2, 0x3f1, v1
	v_or_b32_e32 v0, 0x1000, v8
	v_med3_i32 v2, v2, 0, 13
	v_lshrrev_b32_e32 v10, v2, v0
	v_lshlrev_b32_e32 v2, v2, v10
	v_cmp_ne_u32_e32 vcc, v2, v0
	v_mul_f16_sdwa v2, v11, v15 dst_sel:DWORD dst_unused:UNUSED_PAD src0_sel:DWORD src1_sel:WORD_1
	v_cndmask_b32_e64 v0, 0, 1, vcc
	v_fma_f16 v2, v15, v14, -v2
	v_or_b32_e32 v0, v10, v0
	v_add_u32_e32 v10, 0xfffffc10, v1
	v_cvt_f32_f16_e32 v2, v2
	v_lshl_or_b32 v1, v10, 12, v8
	v_cmp_gt_i32_e32 vcc, 1, v10
	v_cndmask_b32_e32 v0, v1, v0, vcc
	v_and_b32_e32 v1, 7, v0
	v_cmp_lt_i32_e32 vcc, 5, v1
	v_cmp_eq_u32_e64 s[0:1], 3, v1
	v_lshrrev_b32_e32 v11, 2, v0
	v_cvt_f64_f32_e32 v[0:1], v2
	s_or_b64 vcc, s[0:1], vcc
	v_addc_co_u32_e32 v2, vcc, 0, v11, vcc
	v_cmp_gt_i32_e32 vcc, 31, v10
	v_cndmask_b32_e32 v11, v4, v2, vcc
	v_mul_f64 v[1:2], v[0:1], s[14:15]
	v_cmp_ne_u32_e32 vcc, 0, v8
	v_cndmask_b32_e64 v0, 0, 1, vcc
	v_lshl_or_b32 v0, v0, 9, v4
	v_cmp_eq_u32_e32 vcc, s16, v10
	v_cndmask_b32_e32 v0, v11, v0, vcc
	v_lshrrev_b32_e32 v3, 16, v3
	v_and_or_b32 v8, v3, s10, v0
	v_and_or_b32 v0, v2, s18, v1
	v_cmp_ne_u32_e32 vcc, 0, v0
	v_cndmask_b32_e64 v0, 0, 1, vcc
	v_lshrrev_b32_e32 v1, 8, v2
	v_and_or_b32 v3, v1, s17, v0
	v_bfe_u32 v1, v2, 20, 11
	v_sub_u32_e32 v10, 0x3f1, v1
	v_or_b32_e32 v0, 0x1000, v3
	v_med3_i32 v10, v10, 0, 13
	v_lshrrev_b32_e32 v11, v10, v0
	v_lshlrev_b32_e32 v10, v10, v11
	v_cmp_ne_u32_e32 vcc, v10, v0
	v_cndmask_b32_e64 v0, 0, 1, vcc
	v_add_u32_e32 v10, 0xfffffc10, v1
	v_or_b32_e32 v0, v11, v0
	v_lshl_or_b32 v1, v10, 12, v3
	v_cmp_gt_i32_e32 vcc, 1, v10
	v_cndmask_b32_e32 v0, v1, v0, vcc
	v_and_b32_e32 v1, 7, v0
	v_cmp_lt_i32_e32 vcc, 5, v1
	v_cmp_eq_u32_e64 s[0:1], 3, v1
	v_lshrrev_b32_e32 v0, 2, v0
	s_or_b64 vcc, s[0:1], vcc
	v_addc_co_u32_e32 v11, vcc, 0, v0, vcc
	ds_read2_b32 v[0:1], v5 offset0:140 offset1:160
	v_cmp_gt_i32_e32 vcc, 31, v10
	v_cndmask_b32_e32 v11, v4, v11, vcc
	v_cmp_ne_u32_e32 vcc, 0, v3
	v_cndmask_b32_e64 v3, 0, 1, vcc
	s_waitcnt lgkmcnt(0)
	v_lshrrev_b32_e32 v14, 16, v0
	s_waitcnt vmcnt(6)
	v_mul_f16_sdwa v15, v14, v9 dst_sel:DWORD dst_unused:UNUSED_PAD src0_sel:DWORD src1_sel:WORD_1
	v_fma_f16 v15, v0, v9, v15
	v_cvt_f32_f16_e32 v15, v15
	v_lshl_or_b32 v3, v3, 9, v4
	v_cmp_eq_u32_e32 vcc, s16, v10
	v_cndmask_b32_e32 v10, v11, v3, vcc
	v_lshrrev_b32_e32 v11, 16, v2
	v_cvt_f64_f32_e32 v[2:3], v15
	global_load_dword v15, v22, s[6:7] offset:640
	v_and_or_b32 v10, v11, s10, v10
	v_and_b32_e32 v8, 0xffff, v8
	v_mul_f64 v[2:3], v[2:3], s[14:15]
	v_lshl_or_b32 v8, v10, 16, v8
	v_mov_b32_e32 v11, s2
	v_add_co_u32_e32 v10, vcc, s3, v12
	v_addc_co_u32_e32 v11, vcc, v13, v11, vcc
	global_store_dword v[10:11], v8, off
	v_and_or_b32 v2, v3, s18, v2
	v_cmp_ne_u32_e32 vcc, 0, v2
	v_cndmask_b32_e64 v2, 0, 1, vcc
	v_lshrrev_b32_e32 v8, 8, v3
	v_bfe_u32 v12, v3, 20, 11
	v_and_or_b32 v2, v8, s17, v2
	v_sub_u32_e32 v13, 0x3f1, v12
	v_or_b32_e32 v8, 0x1000, v2
	v_med3_i32 v13, v13, 0, 13
	v_lshrrev_b32_e32 v16, v13, v8
	v_lshlrev_b32_e32 v13, v13, v16
	v_mul_f16_sdwa v0, v0, v9 dst_sel:DWORD dst_unused:UNUSED_PAD src0_sel:DWORD src1_sel:WORD_1
	v_cmp_ne_u32_e32 vcc, v13, v8
	v_fma_f16 v0, v9, v14, -v0
	v_cndmask_b32_e64 v8, 0, 1, vcc
	v_add_u32_e32 v12, 0xfffffc10, v12
	v_cvt_f32_f16_e32 v0, v0
	v_or_b32_e32 v8, v16, v8
	v_lshl_or_b32 v13, v12, 12, v2
	v_cmp_gt_i32_e32 vcc, 1, v12
	v_cndmask_b32_e32 v8, v13, v8, vcc
	v_and_b32_e32 v13, 7, v8
	v_cmp_lt_i32_e32 vcc, 5, v13
	v_cmp_eq_u32_e64 s[0:1], 3, v13
	v_lshrrev_b32_e32 v13, 2, v8
	v_cvt_f64_f32_e32 v[8:9], v0
	s_or_b64 vcc, s[0:1], vcc
	v_addc_co_u32_e32 v0, vcc, 0, v13, vcc
	v_mul_f64 v[8:9], v[8:9], s[14:15]
	v_cmp_gt_i32_e32 vcc, 31, v12
	v_cndmask_b32_e32 v0, v4, v0, vcc
	v_cmp_ne_u32_e32 vcc, 0, v2
	v_cndmask_b32_e64 v2, 0, 1, vcc
	v_lshl_or_b32 v2, v2, 9, v4
	v_cmp_eq_u32_e32 vcc, s16, v12
	global_load_dword v14, v22, s[6:7] offset:720
	global_load_dword v16, v22, s[6:7] offset:800
	;; [unrolled: 1-line block ×4, first 2 shown]
	v_cndmask_b32_e32 v0, v0, v2, vcc
	v_lshrrev_b32_e32 v2, 16, v3
	v_and_or_b32 v0, v2, s10, v0
	v_and_or_b32 v2, v9, s18, v8
	v_cmp_ne_u32_e32 vcc, 0, v2
	v_cndmask_b32_e64 v2, 0, 1, vcc
	v_lshrrev_b32_e32 v3, 8, v9
	v_bfe_u32 v8, v9, 20, 11
	v_and_or_b32 v2, v3, s17, v2
	v_sub_u32_e32 v12, 0x3f1, v8
	v_or_b32_e32 v3, 0x1000, v2
	v_med3_i32 v12, v12, 0, 13
	v_lshrrev_b32_e32 v13, v12, v3
	v_lshlrev_b32_e32 v12, v12, v13
	v_cmp_ne_u32_e32 vcc, v12, v3
	v_cndmask_b32_e64 v3, 0, 1, vcc
	v_add_u32_e32 v8, 0xfffffc10, v8
	v_or_b32_e32 v3, v13, v3
	v_lshl_or_b32 v12, v8, 12, v2
	v_cmp_gt_i32_e32 vcc, 1, v8
	v_cndmask_b32_e32 v3, v12, v3, vcc
	v_and_b32_e32 v12, 7, v3
	v_cmp_lt_i32_e32 vcc, 5, v12
	v_cmp_eq_u32_e64 s[0:1], 3, v12
	v_lshrrev_b32_e32 v12, 16, v1
	v_lshrrev_b32_e32 v3, 2, v3
	s_or_b64 vcc, s[0:1], vcc
	v_addc_co_u32_e32 v3, vcc, 0, v3, vcc
	v_cmp_gt_i32_e32 vcc, 31, v8
	v_cndmask_b32_e32 v3, v4, v3, vcc
	v_cmp_ne_u32_e32 vcc, 0, v2
	s_waitcnt vmcnt(5)
	v_mul_f16_sdwa v13, v12, v15 dst_sel:DWORD dst_unused:UNUSED_PAD src0_sel:DWORD src1_sel:WORD_1
	v_fma_f16 v13, v1, v15, v13
	v_cvt_f32_f16_e32 v13, v13
	v_cndmask_b32_e64 v2, 0, 1, vcc
	v_lshl_or_b32 v2, v2, 9, v4
	v_cmp_eq_u32_e32 vcc, s16, v8
	v_cndmask_b32_e32 v8, v3, v2, vcc
	v_cvt_f64_f32_e32 v[2:3], v13
	v_lshrrev_b32_e32 v9, 16, v9
	v_and_or_b32 v8, v9, s10, v8
	v_and_b32_e32 v0, 0xffff, v0
	v_mul_f64 v[2:3], v[2:3], s[14:15]
	v_lshl_or_b32 v0, v8, 16, v0
	v_mov_b32_e32 v9, s2
	v_add_co_u32_e32 v8, vcc, s3, v10
	v_addc_co_u32_e32 v9, vcc, v11, v9, vcc
	global_store_dword v[8:9], v0, off
	v_and_or_b32 v0, v3, s18, v2
	v_cmp_ne_u32_e32 vcc, 0, v0
	v_cndmask_b32_e64 v0, 0, 1, vcc
	v_lshrrev_b32_e32 v2, 8, v3
	v_bfe_u32 v10, v3, 20, 11
	v_and_or_b32 v2, v2, s17, v0
	v_sub_u32_e32 v11, 0x3f1, v10
	v_or_b32_e32 v0, 0x1000, v2
	v_med3_i32 v11, v11, 0, 13
	v_lshrrev_b32_e32 v19, v11, v0
	v_lshlrev_b32_e32 v11, v11, v19
	v_mul_f16_sdwa v1, v1, v15 dst_sel:DWORD dst_unused:UNUSED_PAD src0_sel:DWORD src1_sel:WORD_1
	v_cmp_ne_u32_e32 vcc, v11, v0
	v_fma_f16 v1, v15, v12, -v1
	v_cndmask_b32_e64 v0, 0, 1, vcc
	v_add_u32_e32 v10, 0xfffffc10, v10
	v_cvt_f32_f16_e32 v1, v1
	v_or_b32_e32 v0, v19, v0
	v_lshl_or_b32 v11, v10, 12, v2
	v_cmp_gt_i32_e32 vcc, 1, v10
	v_cndmask_b32_e32 v0, v11, v0, vcc
	v_and_b32_e32 v11, 7, v0
	v_cmp_lt_i32_e32 vcc, 5, v11
	v_cmp_eq_u32_e64 s[0:1], 3, v11
	v_lshrrev_b32_e32 v11, 2, v0
	v_cvt_f64_f32_e32 v[0:1], v1
	s_or_b64 vcc, s[0:1], vcc
	v_addc_co_u32_e32 v11, vcc, 0, v11, vcc
	v_mul_f64 v[0:1], v[0:1], s[14:15]
	v_cmp_gt_i32_e32 vcc, 31, v10
	v_cndmask_b32_e32 v11, v4, v11, vcc
	v_cmp_ne_u32_e32 vcc, 0, v2
	v_cndmask_b32_e64 v2, 0, 1, vcc
	v_lshl_or_b32 v2, v2, 9, v4
	v_cmp_eq_u32_e32 vcc, s16, v10
	v_cndmask_b32_e32 v2, v11, v2, vcc
	v_and_or_b32 v0, v1, s18, v0
	v_lshrrev_b32_e32 v3, 16, v3
	v_cmp_ne_u32_e32 vcc, 0, v0
	v_and_or_b32 v15, v3, s10, v2
	v_cndmask_b32_e64 v0, 0, 1, vcc
	v_lshrrev_b32_e32 v2, 8, v1
	v_bfe_u32 v3, v1, 20, 11
	v_and_or_b32 v0, v2, s17, v0
	v_sub_u32_e32 v10, 0x3f1, v3
	v_or_b32_e32 v2, 0x1000, v0
	v_med3_i32 v10, v10, 0, 13
	v_lshrrev_b32_e32 v11, v10, v2
	v_lshlrev_b32_e32 v10, v10, v11
	v_cmp_ne_u32_e32 vcc, v10, v2
	v_cndmask_b32_e64 v2, 0, 1, vcc
	v_add_u32_e32 v12, 0xfffffc10, v3
	v_or_b32_e32 v2, v11, v2
	v_lshl_or_b32 v3, v12, 12, v0
	v_cmp_gt_i32_e32 vcc, 1, v12
	v_cndmask_b32_e32 v2, v3, v2, vcc
	v_and_b32_e32 v3, 7, v2
	v_cmp_lt_i32_e32 vcc, 5, v3
	v_cmp_eq_u32_e64 s[0:1], 3, v3
	v_lshrrev_b32_e32 v2, 2, v2
	s_or_b64 vcc, s[0:1], vcc
	v_addc_co_u32_e32 v2, vcc, 0, v2, vcc
	ds_read2_b32 v[10:11], v5 offset0:180 offset1:200
	v_or_b32_e32 v13, 0xa0, v21
	v_cmp_gt_i32_e32 vcc, 31, v12
	v_cndmask_b32_e32 v19, v4, v2, vcc
	v_mad_u64_u32 v[2:3], s[0:1], s8, v13, 0
	v_cmp_ne_u32_e32 vcc, 0, v0
	v_cndmask_b32_e64 v0, 0, 1, vcc
	v_lshl_or_b32 v0, v0, 9, v4
	v_cmp_eq_u32_e32 vcc, s16, v12
	s_waitcnt lgkmcnt(0)
	v_lshrrev_b32_e32 v20, 16, v10
	v_cndmask_b32_e32 v19, v19, v0, vcc
	v_mov_b32_e32 v0, v3
	s_waitcnt vmcnt(4)
	v_mul_f16_sdwa v3, v20, v14 dst_sel:DWORD dst_unused:UNUSED_PAD src0_sel:DWORD src1_sel:WORD_1
	v_fma_f16 v3, v10, v14, v3
	v_cvt_f32_f16_e32 v3, v3
	v_mad_u64_u32 v[12:13], s[0:1], s9, v13, v[0:1]
	v_lshrrev_b32_e32 v13, 16, v1
	v_cvt_f64_f32_e32 v[0:1], v3
	v_mov_b32_e32 v3, v12
	v_lshlrev_b64 v[2:3], 2, v[2:3]
	v_and_or_b32 v13, v13, s10, v19
	v_mul_f64 v[0:1], v[0:1], s[14:15]
	v_add_co_u32_e32 v2, vcc, v6, v2
	v_and_b32_e32 v12, 0xffff, v15
	v_addc_co_u32_e32 v3, vcc, v7, v3, vcc
	v_lshl_or_b32 v12, v13, 16, v12
	global_store_dword v[2:3], v12, off
	v_and_or_b32 v0, v1, s18, v0
	v_cmp_ne_u32_e32 vcc, 0, v0
	v_cndmask_b32_e64 v0, 0, 1, vcc
	v_lshrrev_b32_e32 v2, 8, v1
	v_bfe_u32 v3, v1, 20, 11
	v_and_or_b32 v0, v2, s17, v0
	v_sub_u32_e32 v6, 0x3f1, v3
	v_or_b32_e32 v2, 0x1000, v0
	v_med3_i32 v6, v6, 0, 13
	v_lshrrev_b32_e32 v7, v6, v2
	v_lshlrev_b32_e32 v6, v6, v7
	v_cmp_ne_u32_e32 vcc, v6, v2
	v_cndmask_b32_e64 v2, 0, 1, vcc
	v_or_b32_e32 v2, v7, v2
	v_mul_f16_sdwa v7, v10, v14 dst_sel:DWORD dst_unused:UNUSED_PAD src0_sel:DWORD src1_sel:WORD_1
	v_fma_f16 v7, v14, v20, -v7
	v_add_u32_e32 v6, 0xfffffc10, v3
	v_cvt_f32_f16_e32 v7, v7
	v_lshl_or_b32 v3, v6, 12, v0
	v_cmp_gt_i32_e32 vcc, 1, v6
	v_cndmask_b32_e32 v2, v3, v2, vcc
	v_and_b32_e32 v3, 7, v2
	v_cmp_lt_i32_e32 vcc, 5, v3
	v_cmp_eq_u32_e64 s[0:1], 3, v3
	v_lshrrev_b32_e32 v10, 2, v2
	v_cvt_f64_f32_e32 v[2:3], v7
	s_or_b64 vcc, s[0:1], vcc
	v_addc_co_u32_e32 v7, vcc, 0, v10, vcc
	v_mul_f64 v[2:3], v[2:3], s[14:15]
	v_cmp_gt_i32_e32 vcc, 31, v6
	v_cndmask_b32_e32 v7, v4, v7, vcc
	v_cmp_ne_u32_e32 vcc, 0, v0
	v_cndmask_b32_e64 v0, 0, 1, vcc
	v_lshl_or_b32 v0, v0, 9, v4
	v_cmp_eq_u32_e32 vcc, s16, v6
	v_cndmask_b32_e32 v0, v7, v0, vcc
	v_lshrrev_b32_e32 v1, 16, v1
	v_and_or_b32 v6, v1, s10, v0
	v_and_or_b32 v0, v3, s18, v2
	v_cmp_ne_u32_e32 vcc, 0, v0
	v_cndmask_b32_e64 v0, 0, 1, vcc
	v_lshrrev_b32_e32 v1, 8, v3
	v_bfe_u32 v2, v3, 20, 11
	v_and_or_b32 v0, v1, s17, v0
	v_sub_u32_e32 v7, 0x3f1, v2
	v_or_b32_e32 v1, 0x1000, v0
	v_med3_i32 v7, v7, 0, 13
	v_lshrrev_b32_e32 v10, v7, v1
	v_lshlrev_b32_e32 v7, v7, v10
	v_cmp_ne_u32_e32 vcc, v7, v1
	v_cndmask_b32_e64 v1, 0, 1, vcc
	v_add_u32_e32 v2, 0xfffffc10, v2
	v_or_b32_e32 v1, v10, v1
	v_lshl_or_b32 v7, v2, 12, v0
	v_cmp_gt_i32_e32 vcc, 1, v2
	v_cndmask_b32_e32 v1, v7, v1, vcc
	v_and_b32_e32 v7, 7, v1
	v_cmp_lt_i32_e32 vcc, 5, v7
	v_cmp_eq_u32_e64 s[0:1], 3, v7
	v_lshrrev_b32_e32 v7, 16, v11
	v_lshrrev_b32_e32 v1, 2, v1
	s_or_b64 vcc, s[0:1], vcc
	s_waitcnt vmcnt(4)
	v_mul_f16_sdwa v10, v7, v16 dst_sel:DWORD dst_unused:UNUSED_PAD src0_sel:DWORD src1_sel:WORD_1
	v_addc_co_u32_e32 v1, vcc, 0, v1, vcc
	v_fma_f16 v10, v11, v16, v10
	v_cmp_gt_i32_e32 vcc, 31, v2
	v_cvt_f32_f16_e32 v10, v10
	v_cndmask_b32_e32 v1, v4, v1, vcc
	v_cmp_ne_u32_e32 vcc, 0, v0
	v_cndmask_b32_e64 v0, 0, 1, vcc
	v_lshl_or_b32 v0, v0, 9, v4
	v_cmp_eq_u32_e32 vcc, s16, v2
	v_cndmask_b32_e32 v2, v1, v0, vcc
	v_cvt_f64_f32_e32 v[0:1], v10
	v_lshrrev_b32_e32 v3, 16, v3
	v_and_or_b32 v10, v3, s10, v2
	v_mov_b32_e32 v2, 0xa0
	v_mul_f64 v[0:1], v[0:1], s[14:15]
	v_mad_u64_u32 v[2:3], s[0:1], s8, v2, v[8:9]
	v_and_b32_e32 v6, 0xffff, v6
	s_mul_i32 s0, s9, 0xa0
	v_lshl_or_b32 v6, v10, 16, v6
	v_add_u32_e32 v3, s0, v3
	global_store_dword v[2:3], v6, off
	v_and_or_b32 v0, v1, s18, v0
	v_cmp_ne_u32_e32 vcc, 0, v0
	v_cndmask_b32_e64 v0, 0, 1, vcc
	v_lshrrev_b32_e32 v6, 8, v1
	v_bfe_u32 v8, v1, 20, 11
	v_and_or_b32 v0, v6, s17, v0
	v_sub_u32_e32 v9, 0x3f1, v8
	v_or_b32_e32 v6, 0x1000, v0
	v_med3_i32 v9, v9, 0, 13
	v_lshrrev_b32_e32 v10, v9, v6
	v_lshlrev_b32_e32 v9, v9, v10
	v_cmp_ne_u32_e32 vcc, v9, v6
	v_cndmask_b32_e64 v6, 0, 1, vcc
	v_or_b32_e32 v6, v10, v6
	v_mul_f16_sdwa v10, v11, v16 dst_sel:DWORD dst_unused:UNUSED_PAD src0_sel:DWORD src1_sel:WORD_1
	v_fma_f16 v7, v16, v7, -v10
	v_add_u32_e32 v8, 0xfffffc10, v8
	v_cvt_f32_f16_e32 v7, v7
	v_lshl_or_b32 v9, v8, 12, v0
	v_cmp_gt_i32_e32 vcc, 1, v8
	v_cndmask_b32_e32 v6, v9, v6, vcc
	v_and_b32_e32 v9, 7, v6
	v_cmp_lt_i32_e32 vcc, 5, v9
	v_cmp_eq_u32_e64 s[0:1], 3, v9
	v_lshrrev_b32_e32 v9, 2, v6
	v_cvt_f64_f32_e32 v[6:7], v7
	s_or_b64 vcc, s[0:1], vcc
	v_addc_co_u32_e32 v9, vcc, 0, v9, vcc
	v_mul_f64 v[6:7], v[6:7], s[14:15]
	v_cmp_gt_i32_e32 vcc, 31, v8
	v_cndmask_b32_e32 v9, v4, v9, vcc
	v_cmp_ne_u32_e32 vcc, 0, v0
	v_cndmask_b32_e64 v0, 0, 1, vcc
	v_lshl_or_b32 v0, v0, 9, v4
	v_cmp_eq_u32_e32 vcc, s16, v8
	v_cndmask_b32_e32 v0, v9, v0, vcc
	v_lshrrev_b32_e32 v1, 16, v1
	v_and_or_b32 v8, v1, s10, v0
	v_and_or_b32 v0, v7, s18, v6
	v_cmp_ne_u32_e32 vcc, 0, v0
	v_cndmask_b32_e64 v0, 0, 1, vcc
	v_lshrrev_b32_e32 v1, 8, v7
	v_and_or_b32 v6, v1, s17, v0
	v_bfe_u32 v1, v7, 20, 11
	v_sub_u32_e32 v9, 0x3f1, v1
	v_or_b32_e32 v0, 0x1000, v6
	v_med3_i32 v9, v9, 0, 13
	v_lshrrev_b32_e32 v10, v9, v0
	v_lshlrev_b32_e32 v9, v9, v10
	v_cmp_ne_u32_e32 vcc, v9, v0
	v_cndmask_b32_e64 v0, 0, 1, vcc
	v_add_u32_e32 v9, 0xfffffc10, v1
	v_or_b32_e32 v0, v10, v0
	v_lshl_or_b32 v1, v9, 12, v6
	v_cmp_gt_i32_e32 vcc, 1, v9
	v_cndmask_b32_e32 v0, v1, v0, vcc
	v_and_b32_e32 v1, 7, v0
	v_cmp_lt_i32_e32 vcc, 5, v1
	v_cmp_eq_u32_e64 s[0:1], 3, v1
	v_lshrrev_b32_e32 v0, 2, v0
	s_or_b64 vcc, s[0:1], vcc
	v_addc_co_u32_e32 v10, vcc, 0, v0, vcc
	ds_read2_b32 v[0:1], v5 offset0:220 offset1:240
	v_cmp_gt_i32_e32 vcc, 31, v9
	v_cndmask_b32_e32 v5, v4, v10, vcc
	v_cmp_ne_u32_e32 vcc, 0, v6
	v_cndmask_b32_e64 v6, 0, 1, vcc
	s_waitcnt lgkmcnt(0)
	v_lshrrev_b32_e32 v10, 16, v0
	s_waitcnt vmcnt(4)
	v_mul_f16_sdwa v11, v10, v17 dst_sel:DWORD dst_unused:UNUSED_PAD src0_sel:DWORD src1_sel:WORD_1
	v_fma_f16 v11, v0, v17, v11
	v_cvt_f32_f16_e32 v11, v11
	v_lshl_or_b32 v6, v6, 9, v4
	v_cmp_eq_u32_e32 vcc, s16, v9
	v_cndmask_b32_e32 v9, v5, v6, vcc
	v_cvt_f64_f32_e32 v[5:6], v11
	v_lshrrev_b32_e32 v7, 16, v7
	v_and_or_b32 v7, v7, s10, v9
	v_and_b32_e32 v8, 0xffff, v8
	v_mul_f64 v[5:6], v[5:6], s[14:15]
	v_lshl_or_b32 v7, v7, 16, v8
	v_mov_b32_e32 v8, s2
	v_add_co_u32_e32 v2, vcc, s3, v2
	v_addc_co_u32_e32 v3, vcc, v3, v8, vcc
	global_store_dword v[2:3], v7, off
	v_and_or_b32 v5, v6, s18, v5
	v_cmp_ne_u32_e32 vcc, 0, v5
	v_cndmask_b32_e64 v5, 0, 1, vcc
	v_lshrrev_b32_e32 v7, 8, v6
	v_bfe_u32 v8, v6, 20, 11
	v_and_or_b32 v5, v7, s17, v5
	v_sub_u32_e32 v9, 0x3f1, v8
	v_or_b32_e32 v7, 0x1000, v5
	v_med3_i32 v9, v9, 0, 13
	v_lshrrev_b32_e32 v11, v9, v7
	v_lshlrev_b32_e32 v9, v9, v11
	v_mul_f16_sdwa v0, v0, v17 dst_sel:DWORD dst_unused:UNUSED_PAD src0_sel:DWORD src1_sel:WORD_1
	v_cmp_ne_u32_e32 vcc, v9, v7
	v_fma_f16 v0, v17, v10, -v0
	v_cndmask_b32_e64 v7, 0, 1, vcc
	v_add_u32_e32 v9, 0xfffffc10, v8
	v_cvt_f32_f16_e32 v0, v0
	v_or_b32_e32 v7, v11, v7
	v_lshl_or_b32 v8, v9, 12, v5
	v_cmp_gt_i32_e32 vcc, 1, v9
	v_cndmask_b32_e32 v7, v8, v7, vcc
	v_and_b32_e32 v8, 7, v7
	v_cmp_lt_i32_e32 vcc, 5, v8
	v_cmp_eq_u32_e64 s[0:1], 3, v8
	v_lshrrev_b32_e32 v10, 2, v7
	v_cvt_f64_f32_e32 v[7:8], v0
	s_or_b64 vcc, s[0:1], vcc
	v_addc_co_u32_e32 v0, vcc, 0, v10, vcc
	v_mul_f64 v[7:8], v[7:8], s[14:15]
	v_cmp_gt_i32_e32 vcc, 31, v9
	v_cndmask_b32_e32 v0, v4, v0, vcc
	v_cmp_ne_u32_e32 vcc, 0, v5
	v_cndmask_b32_e64 v5, 0, 1, vcc
	v_lshl_or_b32 v5, v5, 9, v4
	v_cmp_eq_u32_e32 vcc, s16, v9
	v_cndmask_b32_e32 v0, v0, v5, vcc
	v_lshrrev_b32_e32 v5, 16, v6
	v_and_or_b32 v0, v5, s10, v0
	v_and_or_b32 v5, v8, s18, v7
	v_cmp_ne_u32_e32 vcc, 0, v5
	v_cndmask_b32_e64 v5, 0, 1, vcc
	v_lshrrev_b32_e32 v6, 8, v8
	v_bfe_u32 v7, v8, 20, 11
	v_and_or_b32 v5, v6, s17, v5
	v_sub_u32_e32 v9, 0x3f1, v7
	v_or_b32_e32 v6, 0x1000, v5
	v_med3_i32 v9, v9, 0, 13
	v_lshrrev_b32_e32 v10, v9, v6
	v_lshlrev_b32_e32 v9, v9, v10
	v_cmp_ne_u32_e32 vcc, v9, v6
	v_cndmask_b32_e64 v6, 0, 1, vcc
	v_add_u32_e32 v7, 0xfffffc10, v7
	v_or_b32_e32 v6, v10, v6
	v_lshl_or_b32 v9, v7, 12, v5
	v_cmp_gt_i32_e32 vcc, 1, v7
	v_cndmask_b32_e32 v6, v9, v6, vcc
	v_and_b32_e32 v9, 7, v6
	v_cmp_lt_i32_e32 vcc, 5, v9
	v_cmp_eq_u32_e64 s[0:1], 3, v9
	v_lshrrev_b32_e32 v9, 16, v1
	v_lshrrev_b32_e32 v6, 2, v6
	s_or_b64 vcc, s[0:1], vcc
	s_waitcnt vmcnt(4)
	v_mul_f16_sdwa v10, v9, v18 dst_sel:DWORD dst_unused:UNUSED_PAD src0_sel:DWORD src1_sel:WORD_1
	v_addc_co_u32_e32 v6, vcc, 0, v6, vcc
	v_fma_f16 v10, v1, v18, v10
	v_cmp_gt_i32_e32 vcc, 31, v7
	v_cvt_f32_f16_e32 v10, v10
	v_cndmask_b32_e32 v6, v4, v6, vcc
	v_cmp_ne_u32_e32 vcc, 0, v5
	v_cndmask_b32_e64 v5, 0, 1, vcc
	v_lshl_or_b32 v5, v5, 9, v4
	v_cmp_eq_u32_e32 vcc, s16, v7
	v_cndmask_b32_e32 v7, v6, v5, vcc
	v_cvt_f64_f32_e32 v[5:6], v10
	v_lshrrev_b32_e32 v8, 16, v8
	v_and_or_b32 v7, v8, s10, v7
	v_and_b32_e32 v0, 0xffff, v0
	v_mul_f64 v[5:6], v[5:6], s[14:15]
	v_lshl_or_b32 v0, v7, 16, v0
	v_mov_b32_e32 v7, s2
	v_add_co_u32_e32 v2, vcc, s3, v2
	v_addc_co_u32_e32 v3, vcc, v3, v7, vcc
	global_store_dword v[2:3], v0, off
	v_and_or_b32 v0, v6, s18, v5
	v_cmp_ne_u32_e32 vcc, 0, v0
	v_cndmask_b32_e64 v0, 0, 1, vcc
	v_lshrrev_b32_e32 v5, 8, v6
	v_bfe_u32 v7, v6, 20, 11
	v_and_or_b32 v5, v5, s17, v0
	v_sub_u32_e32 v8, 0x3f1, v7
	v_or_b32_e32 v0, 0x1000, v5
	v_med3_i32 v8, v8, 0, 13
	v_lshrrev_b32_e32 v10, v8, v0
	v_lshlrev_b32_e32 v8, v8, v10
	v_mul_f16_sdwa v1, v1, v18 dst_sel:DWORD dst_unused:UNUSED_PAD src0_sel:DWORD src1_sel:WORD_1
	v_cmp_ne_u32_e32 vcc, v8, v0
	v_fma_f16 v1, v18, v9, -v1
	v_cndmask_b32_e64 v0, 0, 1, vcc
	v_add_u32_e32 v7, 0xfffffc10, v7
	v_cvt_f32_f16_e32 v1, v1
	v_or_b32_e32 v0, v10, v0
	v_lshl_or_b32 v8, v7, 12, v5
	v_cmp_gt_i32_e32 vcc, 1, v7
	v_cndmask_b32_e32 v0, v8, v0, vcc
	v_and_b32_e32 v8, 7, v0
	v_cmp_lt_i32_e32 vcc, 5, v8
	v_cmp_eq_u32_e64 s[0:1], 3, v8
	v_lshrrev_b32_e32 v8, 2, v0
	v_cvt_f64_f32_e32 v[0:1], v1
	s_or_b64 vcc, s[0:1], vcc
	v_addc_co_u32_e32 v8, vcc, 0, v8, vcc
	v_mul_f64 v[0:1], v[0:1], s[14:15]
	v_cmp_gt_i32_e32 vcc, 31, v7
	v_cndmask_b32_e32 v8, v4, v8, vcc
	v_cmp_ne_u32_e32 vcc, 0, v5
	v_cndmask_b32_e64 v5, 0, 1, vcc
	v_lshl_or_b32 v5, v5, 9, v4
	v_cmp_eq_u32_e32 vcc, s16, v7
	v_cndmask_b32_e32 v5, v8, v5, vcc
	v_and_or_b32 v0, v1, s18, v0
	v_lshrrev_b32_e32 v6, 16, v6
	v_cmp_ne_u32_e32 vcc, 0, v0
	v_and_or_b32 v5, v6, s10, v5
	v_cndmask_b32_e64 v0, 0, 1, vcc
	v_lshrrev_b32_e32 v6, 8, v1
	v_bfe_u32 v7, v1, 20, 11
	v_and_or_b32 v0, v6, s17, v0
	v_sub_u32_e32 v8, 0x3f1, v7
	v_or_b32_e32 v6, 0x1000, v0
	v_med3_i32 v8, v8, 0, 13
	v_lshrrev_b32_e32 v9, v8, v6
	v_lshlrev_b32_e32 v8, v8, v9
	v_cmp_ne_u32_e32 vcc, v8, v6
	v_cndmask_b32_e64 v6, 0, 1, vcc
	v_add_u32_e32 v7, 0xfffffc10, v7
	v_or_b32_e32 v6, v9, v6
	v_lshl_or_b32 v8, v7, 12, v0
	v_cmp_gt_i32_e32 vcc, 1, v7
	v_cndmask_b32_e32 v6, v8, v6, vcc
	v_and_b32_e32 v8, 7, v6
	v_cmp_lt_i32_e32 vcc, 5, v8
	v_cmp_eq_u32_e64 s[0:1], 3, v8
	v_lshrrev_b32_e32 v6, 2, v6
	s_or_b64 vcc, s[0:1], vcc
	v_addc_co_u32_e32 v6, vcc, 0, v6, vcc
	v_cmp_gt_i32_e32 vcc, 31, v7
	v_cndmask_b32_e32 v6, v4, v6, vcc
	v_cmp_ne_u32_e32 vcc, 0, v0
	v_cndmask_b32_e64 v0, 0, 1, vcc
	v_lshl_or_b32 v0, v0, 9, v4
	v_cmp_eq_u32_e32 vcc, s16, v7
	v_cndmask_b32_e32 v0, v6, v0, vcc
	v_lshrrev_b32_e32 v1, 16, v1
	v_and_or_b32 v0, v1, s10, v0
	v_and_b32_e32 v1, 0xffff, v5
	v_lshl_or_b32 v4, v0, 16, v1
	v_mov_b32_e32 v1, s2
	v_add_co_u32_e32 v0, vcc, s3, v2
	v_addc_co_u32_e32 v1, vcc, v3, v1, vcc
	global_store_dword v[0:1], v4, off
.LBB0_15:
	s_endpgm
	.section	.rodata,"a",@progbits
	.p2align	6, 0x0
	.amdhsa_kernel bluestein_single_fwd_len260_dim1_half_op_CI_CI
		.amdhsa_group_segment_fixed_size 2080
		.amdhsa_private_segment_fixed_size 0
		.amdhsa_kernarg_size 104
		.amdhsa_user_sgpr_count 6
		.amdhsa_user_sgpr_private_segment_buffer 1
		.amdhsa_user_sgpr_dispatch_ptr 0
		.amdhsa_user_sgpr_queue_ptr 0
		.amdhsa_user_sgpr_kernarg_segment_ptr 1
		.amdhsa_user_sgpr_dispatch_id 0
		.amdhsa_user_sgpr_flat_scratch_init 0
		.amdhsa_user_sgpr_private_segment_size 0
		.amdhsa_uses_dynamic_stack 0
		.amdhsa_system_sgpr_private_segment_wavefront_offset 0
		.amdhsa_system_sgpr_workgroup_id_x 1
		.amdhsa_system_sgpr_workgroup_id_y 0
		.amdhsa_system_sgpr_workgroup_id_z 0
		.amdhsa_system_sgpr_workgroup_info 0
		.amdhsa_system_vgpr_workitem_id 0
		.amdhsa_next_free_vgpr 117
		.amdhsa_next_free_sgpr 35
		.amdhsa_reserve_vcc 1
		.amdhsa_reserve_flat_scratch 0
		.amdhsa_float_round_mode_32 0
		.amdhsa_float_round_mode_16_64 0
		.amdhsa_float_denorm_mode_32 3
		.amdhsa_float_denorm_mode_16_64 3
		.amdhsa_dx10_clamp 1
		.amdhsa_ieee_mode 1
		.amdhsa_fp16_overflow 0
		.amdhsa_exception_fp_ieee_invalid_op 0
		.amdhsa_exception_fp_denorm_src 0
		.amdhsa_exception_fp_ieee_div_zero 0
		.amdhsa_exception_fp_ieee_overflow 0
		.amdhsa_exception_fp_ieee_underflow 0
		.amdhsa_exception_fp_ieee_inexact 0
		.amdhsa_exception_int_div_zero 0
	.end_amdhsa_kernel
	.text
.Lfunc_end0:
	.size	bluestein_single_fwd_len260_dim1_half_op_CI_CI, .Lfunc_end0-bluestein_single_fwd_len260_dim1_half_op_CI_CI
                                        ; -- End function
	.section	.AMDGPU.csdata,"",@progbits
; Kernel info:
; codeLenInByte = 19052
; NumSgprs: 39
; NumVgprs: 117
; ScratchSize: 0
; MemoryBound: 0
; FloatMode: 240
; IeeeMode: 1
; LDSByteSize: 2080 bytes/workgroup (compile time only)
; SGPRBlocks: 4
; VGPRBlocks: 29
; NumSGPRsForWavesPerEU: 39
; NumVGPRsForWavesPerEU: 117
; Occupancy: 2
; WaveLimiterHint : 1
; COMPUTE_PGM_RSRC2:SCRATCH_EN: 0
; COMPUTE_PGM_RSRC2:USER_SGPR: 6
; COMPUTE_PGM_RSRC2:TRAP_HANDLER: 0
; COMPUTE_PGM_RSRC2:TGID_X_EN: 1
; COMPUTE_PGM_RSRC2:TGID_Y_EN: 0
; COMPUTE_PGM_RSRC2:TGID_Z_EN: 0
; COMPUTE_PGM_RSRC2:TIDIG_COMP_CNT: 0
	.type	__hip_cuid_11d8ea7b5b6f635e,@object ; @__hip_cuid_11d8ea7b5b6f635e
	.section	.bss,"aw",@nobits
	.globl	__hip_cuid_11d8ea7b5b6f635e
__hip_cuid_11d8ea7b5b6f635e:
	.byte	0                               ; 0x0
	.size	__hip_cuid_11d8ea7b5b6f635e, 1

	.ident	"AMD clang version 19.0.0git (https://github.com/RadeonOpenCompute/llvm-project roc-6.4.0 25133 c7fe45cf4b819c5991fe208aaa96edf142730f1d)"
	.section	".note.GNU-stack","",@progbits
	.addrsig
	.addrsig_sym __hip_cuid_11d8ea7b5b6f635e
	.amdgpu_metadata
---
amdhsa.kernels:
  - .args:
      - .actual_access:  read_only
        .address_space:  global
        .offset:         0
        .size:           8
        .value_kind:     global_buffer
      - .actual_access:  read_only
        .address_space:  global
        .offset:         8
        .size:           8
        .value_kind:     global_buffer
      - .actual_access:  read_only
        .address_space:  global
        .offset:         16
        .size:           8
        .value_kind:     global_buffer
      - .actual_access:  read_only
        .address_space:  global
        .offset:         24
        .size:           8
        .value_kind:     global_buffer
      - .actual_access:  read_only
        .address_space:  global
        .offset:         32
        .size:           8
        .value_kind:     global_buffer
      - .offset:         40
        .size:           8
        .value_kind:     by_value
      - .address_space:  global
        .offset:         48
        .size:           8
        .value_kind:     global_buffer
      - .address_space:  global
        .offset:         56
        .size:           8
        .value_kind:     global_buffer
      - .address_space:  global
        .offset:         64
        .size:           8
        .value_kind:     global_buffer
      - .address_space:  global
        .offset:         72
        .size:           8
        .value_kind:     global_buffer
      - .offset:         80
        .size:           4
        .value_kind:     by_value
      - .address_space:  global
        .offset:         88
        .size:           8
        .value_kind:     global_buffer
      - .address_space:  global
        .offset:         96
        .size:           8
        .value_kind:     global_buffer
    .group_segment_fixed_size: 2080
    .kernarg_segment_align: 8
    .kernarg_segment_size: 104
    .language:       OpenCL C
    .language_version:
      - 2
      - 0
    .max_flat_workgroup_size: 52
    .name:           bluestein_single_fwd_len260_dim1_half_op_CI_CI
    .private_segment_fixed_size: 0
    .sgpr_count:     39
    .sgpr_spill_count: 0
    .symbol:         bluestein_single_fwd_len260_dim1_half_op_CI_CI.kd
    .uniform_work_group_size: 1
    .uses_dynamic_stack: false
    .vgpr_count:     117
    .vgpr_spill_count: 0
    .wavefront_size: 64
amdhsa.target:   amdgcn-amd-amdhsa--gfx906
amdhsa.version:
  - 1
  - 2
...

	.end_amdgpu_metadata
